;; amdgpu-corpus repo=ROCm/rocFFT kind=compiled arch=gfx1030 opt=O3
	.text
	.amdgcn_target "amdgcn-amd-amdhsa--gfx1030"
	.amdhsa_code_object_version 6
	.protected	bluestein_single_back_len2197_dim1_dp_op_CI_CI ; -- Begin function bluestein_single_back_len2197_dim1_dp_op_CI_CI
	.globl	bluestein_single_back_len2197_dim1_dp_op_CI_CI
	.p2align	8
	.type	bluestein_single_back_len2197_dim1_dp_op_CI_CI,@function
bluestein_single_back_len2197_dim1_dp_op_CI_CI: ; @bluestein_single_back_len2197_dim1_dp_op_CI_CI
; %bb.0:
	s_load_dwordx4 s[12:15], s[4:5], 0x28
	v_mul_u32_u24_e32 v1, 0x184, v0
	s_mov_b64 s[50:51], s[2:3]
	s_mov_b64 s[48:49], s[0:1]
	v_mov_b32_e32 v3, 0
	s_add_u32 s48, s48, s7
	v_lshrrev_b32_e32 v1, 16, v1
	s_addc_u32 s49, s49, 0
	s_mov_b32 s0, exec_lo
	v_add_nc_u32_e32 v2, s6, v1
	s_waitcnt lgkmcnt(0)
	v_cmpx_gt_u64_e64 s[12:13], v[2:3]
	s_cbranch_execz .LBB0_2
; %bb.1:
	s_clause 0x1
	s_load_dwordx4 s[0:3], s[4:5], 0x18
	s_load_dwordx4 s[8:11], s[4:5], 0x0
	v_mov_b32_e32 v4, v2
	v_mul_lo_u16 v1, 0xa9, v1
	s_mov_b32 s26, 0x4267c47c
	s_mov_b32 s24, 0x42a4c3d2
	;; [unrolled: 1-line block ×4, first 2 shown]
	v_sub_nc_u16 v29, v0, v1
	s_mov_b32 s27, 0xbfddbe06
	s_mov_b32 s25, 0xbfea55e2
	;; [unrolled: 1-line block ×4, first 2 shown]
	v_and_b32_e32 v34, 0xffff, v29
	s_mov_b32 s20, 0xe00740e9
	s_mov_b32 s22, 0xd0032e0c
	;; [unrolled: 1-line block ×4, first 2 shown]
	v_lshlrev_b32_e32 v35, 4, v34
	s_mov_b32 s23, 0xbfe7f3cc
	s_waitcnt lgkmcnt(0)
	s_load_dwordx4 s[16:19], s[0:1], 0x0
	buffer_store_dword v4, off, s[48:51], 0 ; 4-byte Folded Spill
	buffer_store_dword v5, off, s[48:51], 0 offset:4 ; 4-byte Folded Spill
	s_mov_b32 s29, 0xbfef11f4
	v_add_co_u32 v255, s0, s8, v35
	v_add_co_ci_u32_e64 v180, null, s9, 0, s0
	global_load_dwordx4 v[62:65], v35, s[8:9]
	s_mov_b32 s8, 0xebaa3ed8
	s_mov_b32 s9, 0x3fbedb7d
	;; [unrolled: 1-line block ×12, first 2 shown]
	s_waitcnt lgkmcnt(0)
	v_mad_u64_u32 v[0:1], null, s18, v2, 0
	v_mad_u64_u32 v[2:3], null, s16, v34, 0
	s_mul_i32 s1, s17, 0xa90
	s_mul_hi_u32 s6, s16, 0xa90
	s_mul_i32 s0, s16, 0xa90
	s_add_i32 s1, s6, s1
	s_mov_b32 s6, 0x2ef20147
	s_mov_b32 s7, 0xbfedeba7
	s_mov_b32 s40, s6
	s_load_dwordx2 s[4:5], s[4:5], 0x38
	v_mad_u64_u32 v[4:5], null, s19, v4, v[1:2]
	s_mov_b32 s18, 0x1ea71119
	s_mov_b32 s19, 0x3fe22d96
	v_mad_u64_u32 v[5:6], null, s17, v34, v[3:4]
	v_mov_b32_e32 v1, v4
	s_mov_b32 s16, 0xb2365da1
	s_mov_b32 s17, 0xbfd6b1d8
	v_lshlrev_b64 v[0:1], 4, v[0:1]
	v_mov_b32_e32 v3, v5
	v_add_co_u32 v0, vcc_lo, s14, v0
	v_lshlrev_b64 v[2:3], 4, v[2:3]
	v_add_co_ci_u32_e32 v1, vcc_lo, s15, v1, vcc_lo
	s_mov_b32 s14, 0x66966769
	s_mov_b32 s15, 0xbfefc445
	;; [unrolled: 1-line block ×3, first 2 shown]
	v_add_co_u32 v4, vcc_lo, v0, v2
	v_add_co_ci_u32_e32 v5, vcc_lo, v1, v3, vcc_lo
	v_add_co_u32 v6, vcc_lo, 0x800, v255
	v_add_co_ci_u32_e32 v7, vcc_lo, 0, v180, vcc_lo
	;; [unrolled: 2-line block ×3, first 2 shown]
	global_load_dwordx4 v[0:3], v[4:5], off
	global_load_dwordx4 v[38:41], v[6:7], off offset:656
	global_load_dwordx4 v[4:7], v[8:9], off
	v_add_co_u32 v10, vcc_lo, 0x1000, v255
	v_add_co_ci_u32_e32 v11, vcc_lo, 0, v180, vcc_lo
	v_add_co_u32 v12, vcc_lo, v8, s0
	v_add_co_ci_u32_e32 v13, vcc_lo, s1, v9, vcc_lo
	;; [unrolled: 2-line block ×4, first 2 shown]
	global_load_dwordx4 v[58:61], v[10:11], off offset:1312
	global_load_dwordx4 v[8:11], v[12:13], off
	global_load_dwordx4 v[46:49], v[14:15], off offset:1968
	global_load_dwordx4 v[12:15], v[16:17], off
	v_add_co_u32 v18, vcc_lo, 0x2800, v255
	v_add_co_ci_u32_e32 v19, vcc_lo, 0, v180, vcc_lo
	v_add_co_u32 v20, vcc_lo, v16, s0
	v_add_co_ci_u32_e32 v21, vcc_lo, s1, v17, vcc_lo
	;; [unrolled: 2-line block ×4, first 2 shown]
	global_load_dwordx4 v[42:45], v[18:19], off offset:576
	global_load_dwordx4 v[16:19], v[20:21], off
	global_load_dwordx4 v[54:57], v[22:23], off offset:1232
	global_load_dwordx4 v[20:23], v[24:25], off
	v_add_co_u32 v26, vcc_lo, 0x3800, v255
	v_add_co_ci_u32_e32 v27, vcc_lo, 0, v180, vcc_lo
	v_add_co_u32 v30, vcc_lo, v24, s0
	v_add_co_ci_u32_e32 v31, vcc_lo, s1, v25, vcc_lo
	global_load_dwordx4 v[66:69], v[26:27], off offset:1888
	global_load_dwordx4 v[24:27], v[30:31], off
	s_waitcnt vmcnt(13)
	buffer_store_dword v62, off, s[48:51], 0 offset:200 ; 4-byte Folded Spill
	buffer_store_dword v63, off, s[48:51], 0 offset:204 ; 4-byte Folded Spill
	;; [unrolled: 1-line block ×4, first 2 shown]
	s_waitcnt vmcnt(11)
	v_mov_b32_e32 v53, v41
	v_mov_b32_e32 v52, v40
	;; [unrolled: 1-line block ×4, first 2 shown]
	buffer_store_dword v50, off, s[48:51], 0 offset:184 ; 4-byte Folded Spill
	buffer_store_dword v51, off, s[48:51], 0 offset:188 ; 4-byte Folded Spill
	buffer_store_dword v52, off, s[48:51], 0 offset:192 ; 4-byte Folded Spill
	buffer_store_dword v53, off, s[48:51], 0 offset:196 ; 4-byte Folded Spill
	s_waitcnt vmcnt(9)
	buffer_store_dword v58, off, s[48:51], 0 offset:168 ; 4-byte Folded Spill
	buffer_store_dword v59, off, s[48:51], 0 offset:172 ; 4-byte Folded Spill
	buffer_store_dword v60, off, s[48:51], 0 offset:176 ; 4-byte Folded Spill
	buffer_store_dword v61, off, s[48:51], 0 offset:180 ; 4-byte Folded Spill
	s_waitcnt vmcnt(7)
	buffer_store_dword v46, off, s[48:51], 0 offset:152 ; 4-byte Folded Spill
	buffer_store_dword v47, off, s[48:51], 0 offset:156 ; 4-byte Folded Spill
	buffer_store_dword v48, off, s[48:51], 0 offset:160 ; 4-byte Folded Spill
	buffer_store_dword v49, off, s[48:51], 0 offset:164 ; 4-byte Folded Spill
	s_waitcnt vmcnt(5)
	buffer_store_dword v42, off, s[48:51], 0 offset:136 ; 4-byte Folded Spill
	buffer_store_dword v43, off, s[48:51], 0 offset:140 ; 4-byte Folded Spill
	buffer_store_dword v44, off, s[48:51], 0 offset:144 ; 4-byte Folded Spill
	buffer_store_dword v45, off, s[48:51], 0 offset:148 ; 4-byte Folded Spill
	s_waitcnt vmcnt(3)
	buffer_store_dword v54, off, s[48:51], 0 offset:72 ; 4-byte Folded Spill
	buffer_store_dword v55, off, s[48:51], 0 offset:76 ; 4-byte Folded Spill
	;; [unrolled: 1-line block ×4, first 2 shown]
	v_mul_f64 v[32:33], v[2:3], v[64:65]
	v_mul_f64 v[36:37], v[0:1], v[64:65]
	v_fma_f64 v[0:1], v[0:1], v[62:63], v[32:33]
	v_fma_f64 v[2:3], v[2:3], v[62:63], -v[36:37]
	v_mul_f64 v[38:39], v[6:7], v[52:53]
	v_mul_f64 v[40:41], v[4:5], v[52:53]
	;; [unrolled: 1-line block ×4, first 2 shown]
	v_fma_f64 v[4:5], v[4:5], v[50:51], v[38:39]
	v_mul_f64 v[38:39], v[14:15], v[48:49]
	v_fma_f64 v[6:7], v[6:7], v[50:51], -v[40:41]
	v_mul_f64 v[40:41], v[12:13], v[48:49]
	v_fma_f64 v[8:9], v[8:9], v[58:59], v[32:33]
	v_fma_f64 v[10:11], v[10:11], v[58:59], -v[36:37]
	v_mul_f64 v[32:33], v[18:19], v[44:45]
	v_mul_f64 v[36:37], v[16:17], v[44:45]
	v_fma_f64 v[12:13], v[12:13], v[46:47], v[38:39]
	s_waitcnt vmcnt(2)
	v_mul_f64 v[38:39], v[22:23], v[56:57]
	v_fma_f64 v[14:15], v[14:15], v[46:47], -v[40:41]
	v_mul_f64 v[40:41], v[20:21], v[56:57]
	v_fma_f64 v[16:17], v[16:17], v[42:43], v[32:33]
	v_fma_f64 v[18:19], v[18:19], v[42:43], -v[36:37]
	s_waitcnt vmcnt(0)
	v_mul_f64 v[32:33], v[26:27], v[68:69]
	v_mul_f64 v[36:37], v[24:25], v[68:69]
	v_fma_f64 v[20:21], v[20:21], v[54:55], v[38:39]
	v_add_co_u32 v38, vcc_lo, 0x4800, v255
	v_add_co_ci_u32_e32 v39, vcc_lo, 0, v180, vcc_lo
	v_fma_f64 v[22:23], v[22:23], v[54:55], -v[40:41]
	v_add_co_u32 v40, vcc_lo, v30, s0
	global_load_dwordx4 v[42:45], v[38:39], off offset:496
	v_add_co_ci_u32_e32 v41, vcc_lo, s1, v31, vcc_lo
	s_waitcnt vmcnt(0)
	buffer_store_dword v42, off, s[48:51], 0 offset:104 ; 4-byte Folded Spill
	buffer_store_dword v43, off, s[48:51], 0 offset:108 ; 4-byte Folded Spill
	;; [unrolled: 1-line block ×8, first 2 shown]
	v_fma_f64 v[24:25], v[24:25], v[66:67], v[32:33]
	global_load_dwordx4 v[30:33], v[40:41], off
	v_fma_f64 v[26:27], v[26:27], v[66:67], -v[36:37]
	v_add_co_u32 v40, vcc_lo, v40, s0
	v_add_co_ci_u32_e32 v41, vcc_lo, s1, v41, vcc_lo
	s_waitcnt vmcnt(0)
	v_mul_f64 v[36:37], v[32:33], v[44:45]
	v_mul_f64 v[38:39], v[30:31], v[44:45]
	v_fma_f64 v[30:31], v[30:31], v[42:43], v[36:37]
	v_add_co_u32 v36, vcc_lo, 0x5000, v255
	v_add_co_ci_u32_e32 v37, vcc_lo, 0, v180, vcc_lo
	v_fma_f64 v[32:33], v[32:33], v[42:43], -v[38:39]
	global_load_dwordx4 v[46:49], v[36:37], off offset:1152
	s_waitcnt vmcnt(0)
	buffer_store_dword v46, off, s[48:51], 0 offset:8 ; 4-byte Folded Spill
	buffer_store_dword v47, off, s[48:51], 0 offset:12 ; 4-byte Folded Spill
	buffer_store_dword v48, off, s[48:51], 0 offset:16 ; 4-byte Folded Spill
	buffer_store_dword v49, off, s[48:51], 0 offset:20 ; 4-byte Folded Spill
	global_load_dwordx4 v[36:39], v[40:41], off
	v_add_co_u32 v40, vcc_lo, v40, s0
	v_add_co_ci_u32_e32 v41, vcc_lo, s1, v41, vcc_lo
	s_waitcnt vmcnt(0)
	v_mul_f64 v[42:43], v[38:39], v[48:49]
	v_mul_f64 v[44:45], v[36:37], v[48:49]
	v_fma_f64 v[36:37], v[36:37], v[46:47], v[42:43]
	v_add_co_u32 v42, vcc_lo, 0x5800, v255
	v_add_co_ci_u32_e32 v43, vcc_lo, 0, v180, vcc_lo
	v_fma_f64 v[38:39], v[38:39], v[46:47], -v[44:45]
	global_load_dwordx4 v[50:53], v[42:43], off offset:1808
	s_waitcnt vmcnt(0)
	buffer_store_dword v50, off, s[48:51], 0 offset:24 ; 4-byte Folded Spill
	buffer_store_dword v51, off, s[48:51], 0 offset:28 ; 4-byte Folded Spill
	buffer_store_dword v52, off, s[48:51], 0 offset:32 ; 4-byte Folded Spill
	buffer_store_dword v53, off, s[48:51], 0 offset:36 ; 4-byte Folded Spill
	global_load_dwordx4 v[44:47], v[40:41], off
	;; [unrolled: 16-line block ×4, first 2 shown]
	v_add_co_u32 v40, vcc_lo, v40, s0
	v_add_co_ci_u32_e32 v41, vcc_lo, s1, v41, vcc_lo
	s_waitcnt vmcnt(0)
	v_mul_f64 v[42:43], v[50:51], v[64:65]
	v_mul_f64 v[44:45], v[48:49], v[64:65]
	v_fma_f64 v[60:61], v[48:49], v[62:63], v[42:43]
	v_add_co_u32 v42, vcc_lo, 0x7800, v255
	v_add_co_ci_u32_e32 v43, vcc_lo, 0, v180, vcc_lo
	v_fma_f64 v[62:63], v[50:51], v[62:63], -v[44:45]
	global_load_dwordx4 v[42:45], v[42:43], off offset:1728
	global_load_dwordx4 v[64:67], v[40:41], off
	s_waitcnt vmcnt(1)
	v_mov_b32_e32 v47, v45
	v_mov_b32_e32 v46, v44
	;; [unrolled: 1-line block ×4, first 2 shown]
	s_waitcnt vmcnt(0)
	v_mul_f64 v[40:41], v[66:67], v[46:47]
	v_mul_f64 v[42:43], v[64:65], v[46:47]
	v_fma_f64 v[64:65], v[64:65], v[44:45], v[40:41]
	buffer_store_dword v44, off, s[48:51], 0 offset:120 ; 4-byte Folded Spill
	buffer_store_dword v45, off, s[48:51], 0 offset:124 ; 4-byte Folded Spill
	;; [unrolled: 1-line block ×4, first 2 shown]
	ds_write_b128 v35, v[0:3]
	ds_write_b128 v35, v[4:7] offset:2704
	ds_write_b128 v35, v[8:11] offset:5408
	;; [unrolled: 1-line block ×8, first 2 shown]
	s_load_dwordx4 s[0:3], s[2:3], 0x0
	v_fma_f64 v[66:67], v[66:67], v[44:45], -v[42:43]
	ds_write_b128 v35, v[52:55] offset:24336
	ds_write_b128 v35, v[56:59] offset:27040
	;; [unrolled: 1-line block ×4, first 2 shown]
	s_waitcnt lgkmcnt(0)
	s_waitcnt_vscnt null, 0x0
	s_barrier
	buffer_gl0_inv
	ds_read_b128 v[56:59], v35
	ds_read_b128 v[52:55], v35 offset:2704
	ds_read_b128 v[60:63], v35 offset:5408
	;; [unrolled: 1-line block ×9, first 2 shown]
	s_waitcnt lgkmcnt(8)
	v_add_f64 v[0:1], v[56:57], v[52:53]
	v_add_f64 v[2:3], v[58:59], v[54:55]
	s_waitcnt lgkmcnt(1)
	v_add_f64 v[12:13], v[72:73], -v[8:9]
	v_add_f64 v[14:15], v[74:75], -v[10:11]
	v_add_f64 v[84:85], v[76:77], v[80:81]
	v_add_f64 v[86:87], v[78:79], v[82:83]
	v_add_f64 v[4:5], v[76:77], -v[80:81]
	v_add_f64 v[6:7], v[78:79], -v[82:83]
	v_add_f64 v[0:1], v[0:1], v[60:61]
	v_add_f64 v[2:3], v[2:3], v[62:63]
	v_mul_f64 v[130:131], v[12:13], s[34:35]
	v_mul_f64 v[128:129], v[14:15], s[34:35]
	;; [unrolled: 1-line block ×6, first 2 shown]
	v_add_f64 v[0:1], v[0:1], v[64:65]
	v_add_f64 v[2:3], v[2:3], v[66:67]
	;; [unrolled: 1-line block ×10, first 2 shown]
	s_waitcnt lgkmcnt(0)
	v_add_f64 v[72:73], v[68:69], v[20:21]
	v_add_f64 v[74:75], v[70:71], v[22:23]
	;; [unrolled: 1-line block ×6, first 2 shown]
	v_add_f64 v[16:17], v[68:69], -v[20:21]
	v_add_f64 v[18:19], v[70:71], -v[22:23]
	v_add_f64 v[24:25], v[8:9], v[20:21]
	v_add_f64 v[26:27], v[10:11], v[22:23]
	ds_read_b128 v[8:11], v35 offset:27040
	ds_read_b128 v[20:23], v35 offset:29744
	v_mul_f64 v[124:125], v[18:19], s[38:39]
	v_mul_f64 v[126:127], v[16:17], s[38:39]
	s_waitcnt lgkmcnt(1)
	v_add_f64 v[68:69], v[64:65], v[8:9]
	v_add_f64 v[70:71], v[66:67], v[10:11]
	v_add_f64 v[76:77], v[64:65], -v[8:9]
	v_add_f64 v[78:79], v[66:67], -v[10:11]
	v_add_f64 v[8:9], v[24:25], v[8:9]
	v_add_f64 v[10:11], v[26:27], v[10:11]
	s_waitcnt lgkmcnt(0)
	v_add_f64 v[64:65], v[60:61], v[20:21]
	v_add_f64 v[66:67], v[62:63], v[22:23]
	v_add_f64 v[60:61], v[60:61], -v[20:21]
	v_add_f64 v[62:63], v[62:63], -v[22:23]
	v_mul_f64 v[122:123], v[76:77], s[30:31]
	v_add_f64 v[20:21], v[8:9], v[20:21]
	v_add_f64 v[22:23], v[10:11], v[22:23]
	ds_read_b128 v[8:11], v35 offset:32448
	s_waitcnt lgkmcnt(0)
	s_barrier
	buffer_gl0_inv
	v_add_f64 v[24:25], v[54:55], -v[10:11]
	v_add_f64 v[32:33], v[52:53], -v[8:9]
	v_add_f64 v[26:27], v[52:53], v[8:9]
	v_add_f64 v[30:31], v[54:55], v[10:11]
	;; [unrolled: 1-line block ×4, first 2 shown]
	v_mul_f64 v[8:9], v[24:25], s[26:27]
	v_mul_f64 v[10:11], v[24:25], s[24:25]
	;; [unrolled: 1-line block ×9, first 2 shown]
	v_fma_f64 v[38:39], v[26:27], s[20:21], -v[8:9]
	v_fma_f64 v[8:9], v[26:27], s[20:21], v[8:9]
	v_fma_f64 v[40:41], v[26:27], s[18:19], -v[10:11]
	v_fma_f64 v[10:11], v[26:27], s[18:19], v[10:11]
	;; [unrolled: 2-line block ×6, first 2 shown]
	v_mul_f64 v[24:25], v[32:33], s[26:27]
	v_mul_f64 v[26:27], v[32:33], s[24:25]
	;; [unrolled: 1-line block ×3, first 2 shown]
	v_fma_f64 v[100:101], v[30:31], s[16:17], v[82:83]
	v_fma_f64 v[82:83], v[30:31], s[16:17], -v[82:83]
	v_fma_f64 v[98:99], v[30:31], s[8:9], v[80:81]
	v_fma_f64 v[80:81], v[30:31], s[8:9], -v[80:81]
	;; [unrolled: 2-line block ×3, first 2 shown]
	v_add_f64 v[40:41], v[56:57], v[40:41]
	v_add_f64 v[42:43], v[56:57], v[42:43]
	;; [unrolled: 1-line block ×7, first 2 shown]
	v_fma_f64 v[94:95], v[30:31], s[20:21], v[24:25]
	v_fma_f64 v[24:25], v[30:31], s[20:21], -v[24:25]
	v_fma_f64 v[96:97], v[30:31], s[18:19], v[26:27]
	v_fma_f64 v[26:27], v[30:31], s[18:19], -v[26:27]
	v_fma_f64 v[104:105], v[30:31], s[28:29], v[32:33]
	v_fma_f64 v[30:31], v[30:31], s[28:29], -v[32:33]
	v_add_f64 v[114:115], v[58:59], v[82:83]
	v_add_f64 v[82:83], v[56:57], v[36:37]
	v_mul_f64 v[36:37], v[62:63], s[24:25]
	v_add_f64 v[32:33], v[56:57], v[38:39]
	v_add_f64 v[98:99], v[58:59], v[98:99]
	;; [unrolled: 1-line block ×12, first 2 shown]
	v_mul_f64 v[56:57], v[60:61], s[24:25]
	v_add_f64 v[106:107], v[58:59], v[24:25]
	v_fma_f64 v[30:31], v[64:65], s[18:19], -v[36:37]
	v_add_f64 v[96:97], v[58:59], v[96:97]
	v_add_f64 v[24:25], v[58:59], v[104:105]
	v_fma_f64 v[36:37], v[64:65], s[18:19], v[36:37]
	v_add_f64 v[30:31], v[30:31], v[32:33]
	v_fma_f64 v[32:33], v[66:67], s[18:19], v[56:57]
	v_fma_f64 v[56:57], v[66:67], s[18:19], -v[56:57]
	v_add_f64 v[36:37], v[36:37], v[94:95]
	v_mul_f64 v[94:95], v[60:61], s[30:31]
	v_add_f64 v[32:33], v[32:33], v[38:39]
	v_mul_f64 v[38:39], v[78:79], s[14:15]
	;; [unrolled: 2-line block ×3, first 2 shown]
	v_fma_f64 v[58:59], v[68:69], s[8:9], -v[38:39]
	v_fma_f64 v[38:39], v[68:69], s[8:9], v[38:39]
	v_add_f64 v[30:31], v[58:59], v[30:31]
	v_mul_f64 v[58:59], v[76:77], s[14:15]
	v_add_f64 v[36:37], v[38:39], v[36:37]
	v_fma_f64 v[88:89], v[70:71], s[8:9], v[58:59]
	v_fma_f64 v[38:39], v[70:71], s[8:9], -v[58:59]
	v_add_f64 v[32:33], v[88:89], v[32:33]
	v_mul_f64 v[88:89], v[18:19], s[6:7]
	v_add_f64 v[38:39], v[38:39], v[56:57]
	v_fma_f64 v[90:91], v[72:73], s[16:17], -v[88:89]
	v_fma_f64 v[56:57], v[72:73], s[16:17], v[88:89]
	v_add_f64 v[30:31], v[90:91], v[30:31]
	v_mul_f64 v[90:91], v[16:17], s[6:7]
	v_add_f64 v[36:37], v[56:57], v[36:37]
	v_fma_f64 v[92:93], v[74:75], s[16:17], v[90:91]
	v_fma_f64 v[56:57], v[74:75], s[16:17], -v[90:91]
	v_add_f64 v[32:33], v[92:93], v[32:33]
	v_mul_f64 v[92:93], v[14:15], s[12:13]
	v_add_f64 v[38:39], v[56:57], v[38:39]
	v_fma_f64 v[102:103], v[0:1], s[22:23], -v[92:93]
	v_fma_f64 v[56:57], v[0:1], s[22:23], v[92:93]
	v_mul_f64 v[92:93], v[62:63], s[30:31]
	v_add_f64 v[30:31], v[102:103], v[30:31]
	v_mul_f64 v[102:103], v[12:13], s[12:13]
	v_add_f64 v[36:37], v[56:57], v[36:37]
	v_fma_f64 v[104:105], v[2:3], s[22:23], v[102:103]
	v_fma_f64 v[56:57], v[2:3], s[22:23], -v[102:103]
	v_mul_f64 v[102:103], v[18:19], s[36:37]
	v_add_f64 v[32:33], v[104:105], v[32:33]
	v_mul_f64 v[104:105], v[6:7], s[30:31]
	v_add_f64 v[38:39], v[56:57], v[38:39]
	v_fma_f64 v[118:119], v[84:85], s[28:29], -v[104:105]
	v_fma_f64 v[56:57], v[84:85], s[28:29], v[104:105]
	v_mul_f64 v[104:105], v[16:17], s[36:37]
	v_add_f64 v[30:31], v[118:119], v[30:31]
	v_mul_f64 v[118:119], v[4:5], s[30:31]
	v_add_f64 v[56:57], v[56:57], v[36:37]
	v_fma_f64 v[120:121], v[86:87], s[28:29], v[118:119]
	v_fma_f64 v[58:59], v[86:87], s[28:29], -v[118:119]
	v_mul_f64 v[118:119], v[62:63], s[6:7]
	v_add_f64 v[32:33], v[120:121], v[32:33]
	v_mul_f64 v[120:121], v[78:79], s[30:31]
	v_fma_f64 v[36:37], v[64:65], s[16:17], -v[118:119]
	v_add_f64 v[58:59], v[58:59], v[38:39]
	v_fma_f64 v[88:89], v[68:69], s[28:29], -v[120:121]
	v_add_f64 v[36:37], v[36:37], v[40:41]
	v_mul_f64 v[40:41], v[60:61], s[6:7]
	v_add_f64 v[36:37], v[88:89], v[36:37]
	v_fma_f64 v[38:39], v[66:67], s[16:17], v[40:41]
	v_fma_f64 v[88:89], v[70:71], s[28:29], v[122:123]
	v_add_f64 v[38:39], v[38:39], v[96:97]
	v_mul_f64 v[96:97], v[78:79], s[40:41]
	v_add_f64 v[38:39], v[88:89], v[38:39]
	v_fma_f64 v[88:89], v[72:73], s[22:23], -v[124:125]
	v_fma_f64 v[90:91], v[68:69], s[16:17], -v[96:97]
	v_fma_f64 v[96:97], v[68:69], s[16:17], v[96:97]
	v_add_f64 v[36:37], v[88:89], v[36:37]
	v_fma_f64 v[88:89], v[74:75], s[22:23], v[126:127]
	v_add_f64 v[38:39], v[88:89], v[38:39]
	v_fma_f64 v[88:89], v[0:1], s[8:9], -v[128:129]
	v_add_f64 v[36:37], v[88:89], v[36:37]
	v_fma_f64 v[88:89], v[2:3], s[8:9], v[130:131]
	v_add_f64 v[38:39], v[88:89], v[38:39]
	v_fma_f64 v[88:89], v[84:85], s[20:21], -v[132:133]
	;; [unrolled: 4-line block ×3, first 2 shown]
	v_fma_f64 v[92:93], v[64:65], s[28:29], v[92:93]
	v_add_f64 v[42:43], v[88:89], v[42:43]
	v_fma_f64 v[88:89], v[66:67], s[28:29], v[94:95]
	v_add_f64 v[92:93], v[92:93], v[108:109]
	v_fma_f64 v[94:95], v[66:67], s[28:29], -v[94:95]
	v_mul_f64 v[108:109], v[16:17], s[14:15]
	v_add_f64 v[42:43], v[90:91], v[42:43]
	v_add_f64 v[88:89], v[88:89], v[98:99]
	v_mul_f64 v[98:99], v[76:77], s[40:41]
	v_add_f64 v[94:95], v[94:95], v[110:111]
	v_add_f64 v[92:93], v[96:97], v[92:93]
	v_mul_f64 v[110:111], v[14:15], s[44:45]
	v_fma_f64 v[90:91], v[70:71], s[16:17], v[98:99]
	v_fma_f64 v[96:97], v[70:71], s[16:17], -v[98:99]
	v_add_f64 v[88:89], v[90:91], v[88:89]
	v_fma_f64 v[90:91], v[72:73], s[20:21], -v[102:103]
	v_add_f64 v[94:95], v[96:97], v[94:95]
	v_fma_f64 v[96:97], v[72:73], s[20:21], v[102:103]
	v_mul_f64 v[102:103], v[60:61], s[38:39]
	v_add_f64 v[42:43], v[90:91], v[42:43]
	v_fma_f64 v[90:91], v[74:75], s[20:21], v[104:105]
	v_add_f64 v[92:93], v[96:97], v[92:93]
	v_fma_f64 v[96:97], v[74:75], s[20:21], -v[104:105]
	v_mul_f64 v[104:105], v[76:77], s[36:37]
	v_add_f64 v[88:89], v[90:91], v[88:89]
	v_fma_f64 v[90:91], v[0:1], s[18:19], -v[106:107]
	v_add_f64 v[94:95], v[96:97], v[94:95]
	v_fma_f64 v[96:97], v[0:1], s[18:19], v[106:107]
	v_mul_f64 v[106:107], v[18:19], s[14:15]
	v_add_f64 v[42:43], v[90:91], v[42:43]
	v_fma_f64 v[90:91], v[2:3], s[18:19], v[136:137]
	v_add_f64 v[92:93], v[96:97], v[92:93]
	v_fma_f64 v[96:97], v[2:3], s[18:19], -v[136:137]
	v_mul_f64 v[136:137], v[12:13], s[44:45]
	v_add_f64 v[90:91], v[90:91], v[88:89]
	v_fma_f64 v[88:89], v[84:85], s[22:23], -v[138:139]
	v_add_f64 v[94:95], v[96:97], v[94:95]
	v_fma_f64 v[96:97], v[84:85], s[22:23], v[138:139]
	v_mul_f64 v[138:139], v[6:7], s[42:43]
	v_add_f64 v[88:89], v[88:89], v[42:43]
	v_mul_f64 v[42:43], v[4:5], s[12:13]
	v_add_f64 v[92:93], v[96:97], v[92:93]
	v_fma_f64 v[140:141], v[86:87], s[22:23], v[42:43]
	v_fma_f64 v[42:43], v[86:87], s[22:23], -v[42:43]
	v_add_f64 v[90:91], v[140:141], v[90:91]
	v_add_f64 v[94:95], v[42:43], v[94:95]
	v_mul_f64 v[42:43], v[62:63], s[38:39]
	v_fma_f64 v[96:97], v[64:65], s[22:23], -v[42:43]
	v_fma_f64 v[42:43], v[64:65], s[22:23], v[42:43]
	v_add_f64 v[44:45], v[96:97], v[44:45]
	v_fma_f64 v[96:97], v[66:67], s[22:23], v[102:103]
	v_add_f64 v[42:43], v[42:43], v[112:113]
	v_fma_f64 v[102:103], v[66:67], s[22:23], -v[102:103]
	v_mul_f64 v[112:113], v[18:19], s[44:45]
	v_mul_f64 v[18:19], v[18:19], s[42:43]
	v_add_f64 v[96:97], v[96:97], v[100:101]
	v_mul_f64 v[100:101], v[78:79], s[36:37]
	v_add_f64 v[102:103], v[102:103], v[114:115]
	v_mul_f64 v[114:115], v[16:17], s[44:45]
	v_mul_f64 v[16:17], v[16:17], s[42:43]
	v_fma_f64 v[98:99], v[68:69], s[20:21], -v[100:101]
	v_fma_f64 v[100:101], v[68:69], s[20:21], v[100:101]
	v_add_f64 v[44:45], v[98:99], v[44:45]
	v_fma_f64 v[98:99], v[70:71], s[20:21], v[104:105]
	v_add_f64 v[42:43], v[100:101], v[42:43]
	v_fma_f64 v[100:101], v[70:71], s[20:21], -v[104:105]
	v_add_f64 v[96:97], v[98:99], v[96:97]
	v_fma_f64 v[98:99], v[72:73], s[8:9], -v[106:107]
	v_add_f64 v[100:101], v[100:101], v[102:103]
	v_fma_f64 v[102:103], v[72:73], s[8:9], v[106:107]
	v_add_f64 v[44:45], v[98:99], v[44:45]
	v_fma_f64 v[98:99], v[74:75], s[8:9], v[108:109]
	v_add_f64 v[42:43], v[102:103], v[42:43]
	v_fma_f64 v[102:103], v[74:75], s[8:9], -v[108:109]
	v_mul_f64 v[108:109], v[78:79], s[24:25]
	v_add_f64 v[96:97], v[98:99], v[96:97]
	v_fma_f64 v[98:99], v[0:1], s[28:29], -v[110:111]
	v_add_f64 v[100:101], v[102:103], v[100:101]
	v_fma_f64 v[102:103], v[0:1], s[28:29], v[110:111]
	v_fma_f64 v[106:107], v[68:69], s[18:19], -v[108:109]
	v_mul_f64 v[110:111], v[76:77], s[24:25]
	v_add_f64 v[44:45], v[98:99], v[44:45]
	v_fma_f64 v[98:99], v[2:3], s[28:29], v[136:137]
	v_add_f64 v[42:43], v[102:103], v[42:43]
	v_fma_f64 v[102:103], v[2:3], s[28:29], -v[136:137]
	v_mul_f64 v[136:137], v[12:13], s[36:37]
	v_mul_f64 v[12:13], v[12:13], s[6:7]
	v_add_f64 v[98:99], v[98:99], v[96:97]
	v_fma_f64 v[96:97], v[84:85], s[18:19], -v[138:139]
	v_add_f64 v[102:103], v[102:103], v[100:101]
	v_fma_f64 v[100:101], v[84:85], s[18:19], v[138:139]
	v_mul_f64 v[138:139], v[6:7], s[6:7]
	v_add_f64 v[96:97], v[96:97], v[44:45]
	v_mul_f64 v[44:45], v[4:5], s[42:43]
	v_add_f64 v[100:101], v[100:101], v[42:43]
	v_mul_f64 v[42:43], v[62:63], s[34:35]
	v_fma_f64 v[140:141], v[86:87], s[18:19], v[44:45]
	v_fma_f64 v[44:45], v[86:87], s[18:19], -v[44:45]
	v_add_f64 v[98:99], v[140:141], v[98:99]
	v_add_f64 v[102:103], v[44:45], v[102:103]
	v_fma_f64 v[44:45], v[64:65], s[8:9], -v[42:43]
	v_fma_f64 v[42:43], v[64:65], s[8:9], v[42:43]
	v_add_f64 v[44:45], v[44:45], v[46:47]
	v_mul_f64 v[46:47], v[60:61], s[34:35]
	v_add_f64 v[42:43], v[42:43], v[82:83]
	v_add_f64 v[44:45], v[106:107], v[44:45]
	v_fma_f64 v[104:105], v[66:67], s[8:9], v[46:47]
	v_fma_f64 v[46:47], v[66:67], s[8:9], -v[46:47]
	v_fma_f64 v[106:107], v[70:71], s[18:19], v[110:111]
	v_add_f64 v[104:105], v[104:105], v[116:117]
	v_add_f64 v[46:47], v[46:47], v[80:81]
	v_fma_f64 v[80:81], v[68:69], s[18:19], v[108:109]
	v_mul_f64 v[116:117], v[14:15], s[36:37]
	v_mul_f64 v[14:15], v[14:15], s[6:7]
	v_add_f64 v[104:105], v[106:107], v[104:105]
	v_fma_f64 v[106:107], v[72:73], s[28:29], -v[112:113]
	v_add_f64 v[42:43], v[80:81], v[42:43]
	v_fma_f64 v[80:81], v[70:71], s[18:19], -v[110:111]
	v_add_f64 v[44:45], v[106:107], v[44:45]
	v_fma_f64 v[106:107], v[74:75], s[28:29], v[114:115]
	v_add_f64 v[46:47], v[80:81], v[46:47]
	v_fma_f64 v[80:81], v[72:73], s[28:29], v[112:113]
	v_add_f64 v[104:105], v[106:107], v[104:105]
	v_fma_f64 v[106:107], v[0:1], s[20:21], -v[116:117]
	v_add_f64 v[42:43], v[80:81], v[42:43]
	v_fma_f64 v[80:81], v[74:75], s[28:29], -v[114:115]
	v_add_f64 v[44:45], v[106:107], v[44:45]
	v_fma_f64 v[106:107], v[2:3], s[20:21], v[136:137]
	v_add_f64 v[46:47], v[80:81], v[46:47]
	v_fma_f64 v[80:81], v[0:1], s[20:21], v[116:117]
	v_add_f64 v[106:107], v[106:107], v[104:105]
	v_fma_f64 v[104:105], v[84:85], s[16:17], -v[138:139]
	v_add_f64 v[42:43], v[80:81], v[42:43]
	v_fma_f64 v[80:81], v[2:3], s[20:21], -v[136:137]
	v_add_f64 v[104:105], v[104:105], v[44:45]
	v_mul_f64 v[44:45], v[4:5], s[6:7]
	v_add_f64 v[46:47], v[80:81], v[46:47]
	v_fma_f64 v[80:81], v[84:85], s[16:17], v[138:139]
	v_fma_f64 v[140:141], v[86:87], s[16:17], v[44:45]
	v_fma_f64 v[44:45], v[86:87], s[16:17], -v[44:45]
	v_add_f64 v[80:81], v[80:81], v[42:43]
	v_mul_f64 v[42:43], v[62:63], s[36:37]
	v_add_f64 v[106:107], v[140:141], v[106:107]
	v_add_f64 v[82:83], v[44:45], v[46:47]
	v_fma_f64 v[44:45], v[64:65], s[20:21], -v[42:43]
	v_add_f64 v[26:27], v[44:45], v[26:27]
	v_mul_f64 v[44:45], v[60:61], s[36:37]
	v_fma_f64 v[46:47], v[66:67], s[20:21], v[44:45]
	v_add_f64 v[24:25], v[46:47], v[24:25]
	v_mul_f64 v[46:47], v[78:79], s[12:13]
	v_fma_f64 v[60:61], v[68:69], s[22:23], -v[46:47]
	v_add_f64 v[26:27], v[60:61], v[26:27]
	v_mul_f64 v[60:61], v[76:77], s[12:13]
	v_mul_f64 v[76:77], v[4:5], s[34:35]
	v_fma_f64 v[62:63], v[70:71], s[22:23], v[60:61]
	v_add_f64 v[24:25], v[62:63], v[24:25]
	v_fma_f64 v[62:63], v[72:73], s[18:19], -v[18:19]
	v_fma_f64 v[18:19], v[72:73], s[18:19], v[18:19]
	v_add_f64 v[26:27], v[62:63], v[26:27]
	v_fma_f64 v[62:63], v[74:75], s[18:19], v[16:17]
	v_fma_f64 v[16:17], v[74:75], s[18:19], -v[16:17]
	v_add_f64 v[24:25], v[62:63], v[24:25]
	v_fma_f64 v[62:63], v[0:1], s[16:17], -v[14:15]
	v_fma_f64 v[14:15], v[0:1], s[16:17], v[14:15]
	v_fma_f64 v[0:1], v[0:1], s[8:9], v[128:129]
	v_add_f64 v[26:27], v[62:63], v[26:27]
	v_fma_f64 v[62:63], v[2:3], s[16:17], v[12:13]
	v_fma_f64 v[12:13], v[2:3], s[16:17], -v[12:13]
	v_fma_f64 v[2:3], v[2:3], s[8:9], -v[130:131]
	v_add_f64 v[24:25], v[62:63], v[24:25]
	v_mul_f64 v[62:63], v[6:7], s[34:35]
	v_fma_f64 v[6:7], v[86:87], s[8:9], v[76:77]
	v_fma_f64 v[4:5], v[84:85], s[8:9], -v[62:63]
	v_add_f64 v[6:7], v[6:7], v[24:25]
	v_fma_f64 v[24:25], v[64:65], s[20:21], v[42:43]
	v_add_f64 v[4:5], v[4:5], v[26:27]
	v_add_f64 v[22:23], v[24:25], v[22:23]
	v_fma_f64 v[24:25], v[66:67], s[20:21], -v[44:45]
	v_add_f64 v[20:21], v[24:25], v[20:21]
	v_fma_f64 v[24:25], v[68:69], s[22:23], v[46:47]
	v_add_f64 v[22:23], v[24:25], v[22:23]
	v_fma_f64 v[24:25], v[70:71], s[22:23], -v[60:61]
	v_add_f64 v[18:19], v[18:19], v[22:23]
	v_add_f64 v[20:21], v[24:25], v[20:21]
	v_fma_f64 v[22:23], v[70:71], s[28:29], -v[122:123]
	v_add_f64 v[14:15], v[14:15], v[18:19]
	v_add_f64 v[16:17], v[16:17], v[20:21]
	v_fma_f64 v[18:19], v[86:87], s[8:9], -v[76:77]
	v_fma_f64 v[20:21], v[68:69], s[28:29], v[120:121]
	v_add_f64 v[16:17], v[12:13], v[16:17]
	v_fma_f64 v[12:13], v[84:85], s[8:9], v[62:63]
	v_add_f64 v[12:13], v[12:13], v[14:15]
	v_add_f64 v[14:15], v[18:19], v[16:17]
	v_fma_f64 v[16:17], v[64:65], s[16:17], v[118:119]
	v_fma_f64 v[18:19], v[66:67], s[16:17], -v[40:41]
	v_add_f64 v[8:9], v[16:17], v[8:9]
	v_fma_f64 v[16:17], v[72:73], s[22:23], v[124:125]
	v_add_f64 v[10:11], v[18:19], v[10:11]
	v_fma_f64 v[18:19], v[74:75], s[22:23], -v[126:127]
	v_add_f64 v[8:9], v[20:21], v[8:9]
	v_add_f64 v[10:11], v[22:23], v[10:11]
	v_add_f64 v[8:9], v[16:17], v[8:9]
	v_fma_f64 v[16:17], v[84:85], s[20:21], v[132:133]
	v_add_f64 v[10:11], v[18:19], v[10:11]
	v_fma_f64 v[18:19], v[86:87], s[20:21], -v[134:135]
	v_add_f64 v[0:1], v[0:1], v[8:9]
	v_add_f64 v[2:3], v[2:3], v[10:11]
	;; [unrolled: 1-line block ×3, first 2 shown]
	v_mov_b32_e32 v0, 4
	v_mul_lo_u16 v1, v29, 13
	v_add_f64 v[10:11], v[18:19], v[2:3]
	v_lshlrev_b32_sdwa v51, v0, v1 dst_sel:DWORD dst_unused:UNUSED_PAD src0_sel:DWORD src1_sel:WORD_0
	v_and_b32_e32 v0, 0xff, v29
	ds_write_b128 v51, v[30:33] offset:16
	ds_write_b128 v51, v[36:39] offset:32
	;; [unrolled: 1-line block ×10, first 2 shown]
	v_mul_lo_u16 v0, 0x4f, v0
	ds_write_b128 v51, v[8:11] offset:176
	ds_write_b128 v51, v[56:59] offset:192
	ds_write_b128 v51, v[52:55]
	v_lshrrev_b16 v30, 10, v0
	s_waitcnt lgkmcnt(0)
	s_barrier
	buffer_gl0_inv
	v_mul_lo_u16 v0, v30, 13
	v_sub_nc_u16 v0, v29, v0
	v_and_b32_e32 v29, 0xff, v0
	v_mul_u32_u24_e32 v0, 12, v29
	v_lshlrev_b32_e32 v0, 4, v0
	s_clause 0x1
	global_load_dwordx4 v[56:59], v0, s[10:11]
	global_load_dwordx4 v[52:55], v0, s[10:11] offset:16
	ds_read_b128 v[60:63], v35 offset:2704
	ds_read_b128 v[12:15], v35
	s_waitcnt vmcnt(1) lgkmcnt(1)
	v_mul_f64 v[1:2], v[62:63], v[58:59]
	v_fma_f64 v[9:10], v[60:61], v[56:57], -v[1:2]
	v_mul_f64 v[1:2], v[60:61], v[58:59]
	s_waitcnt lgkmcnt(0)
	v_add_f64 v[160:161], v[12:13], v[9:10]
	v_fma_f64 v[16:17], v[62:63], v[56:57], v[1:2]
	ds_read_b128 v[1:4], v35 offset:5408
	ds_read_b128 v[5:8], v35 offset:8112
	s_clause 0x1
	global_load_dwordx4 v[72:75], v0, s[10:11] offset:32
	global_load_dwordx4 v[60:63], v0, s[10:11] offset:48
	s_waitcnt vmcnt(2) lgkmcnt(1)
	v_mul_f64 v[18:19], v[3:4], v[54:55]
	v_add_f64 v[162:163], v[14:15], v[16:17]
	v_fma_f64 v[116:117], v[1:2], v[52:53], -v[18:19]
	v_mul_f64 v[1:2], v[1:2], v[54:55]
	v_fma_f64 v[118:119], v[3:4], v[52:53], v[1:2]
	s_waitcnt vmcnt(1) lgkmcnt(0)
	v_mul_f64 v[1:2], v[7:8], v[74:75]
	v_fma_f64 v[120:121], v[5:6], v[72:73], -v[1:2]
	v_mul_f64 v[1:2], v[5:6], v[74:75]
	v_fma_f64 v[122:123], v[7:8], v[72:73], v[1:2]
	ds_read_b128 v[1:4], v35 offset:10816
	ds_read_b128 v[5:8], v35 offset:13520
	s_clause 0x1
	global_load_dwordx4 v[80:83], v0, s[10:11] offset:64
	global_load_dwordx4 v[64:67], v0, s[10:11] offset:80
	s_waitcnt vmcnt(2) lgkmcnt(1)
	v_mul_f64 v[18:19], v[3:4], v[62:63]
	v_fma_f64 v[124:125], v[1:2], v[60:61], -v[18:19]
	v_mul_f64 v[1:2], v[1:2], v[62:63]
	v_fma_f64 v[126:127], v[3:4], v[60:61], v[1:2]
	s_waitcnt vmcnt(1) lgkmcnt(0)
	v_mul_f64 v[1:2], v[7:8], v[82:83]
	v_fma_f64 v[128:129], v[5:6], v[80:81], -v[1:2]
	v_mul_f64 v[1:2], v[5:6], v[82:83]
	v_fma_f64 v[130:131], v[7:8], v[80:81], v[1:2]
	ds_read_b128 v[1:4], v35 offset:16224
	ds_read_b128 v[5:8], v35 offset:18928
	s_clause 0x1
	global_load_dwordx4 v[84:87], v0, s[10:11] offset:96
	global_load_dwordx4 v[68:71], v0, s[10:11] offset:112
	s_waitcnt vmcnt(2) lgkmcnt(1)
	v_mul_f64 v[18:19], v[3:4], v[66:67]
	v_fma_f64 v[132:133], v[1:2], v[64:65], -v[18:19]
	v_mul_f64 v[1:2], v[1:2], v[66:67]
	v_fma_f64 v[134:135], v[3:4], v[64:65], v[1:2]
	s_waitcnt vmcnt(1) lgkmcnt(0)
	v_mul_f64 v[1:2], v[7:8], v[86:87]
	v_fma_f64 v[136:137], v[5:6], v[84:85], -v[1:2]
	v_mul_f64 v[1:2], v[5:6], v[86:87]
	v_add_f64 v[209:210], v[132:133], v[136:137]
	v_fma_f64 v[138:139], v[7:8], v[84:85], v[1:2]
	ds_read_b128 v[1:4], v35 offset:21632
	ds_read_b128 v[5:8], v35 offset:24336
	s_clause 0x1
	global_load_dwordx4 v[92:95], v0, s[10:11] offset:128
	global_load_dwordx4 v[76:79], v0, s[10:11] offset:144
	v_add_f64 v[213:214], v[132:133], -v[136:137]
	s_waitcnt vmcnt(2) lgkmcnt(1)
	v_mul_f64 v[18:19], v[3:4], v[70:71]
	v_add_f64 v[211:212], v[134:135], -v[138:139]
	v_mul_f64 v[215:216], v[213:214], s[30:31]
	v_fma_f64 v[140:141], v[1:2], v[68:69], -v[18:19]
	v_mul_f64 v[1:2], v[1:2], v[70:71]
	v_add_f64 v[207:208], v[128:129], v[140:141]
	v_fma_f64 v[142:143], v[3:4], v[68:69], v[1:2]
	s_waitcnt vmcnt(1) lgkmcnt(0)
	v_mul_f64 v[1:2], v[7:8], v[94:95]
	v_fma_f64 v[144:145], v[5:6], v[92:93], -v[1:2]
	v_mul_f64 v[1:2], v[5:6], v[94:95]
	v_add_f64 v[205:206], v[124:125], v[144:145]
	v_fma_f64 v[146:147], v[7:8], v[92:93], v[1:2]
	ds_read_b128 v[1:4], v35 offset:27040
	ds_read_b128 v[5:8], v35 offset:29744
	s_clause 0x1
	global_load_dwordx4 v[96:99], v0, s[10:11] offset:160
	global_load_dwordx4 v[88:91], v0, s[10:11] offset:176
	s_waitcnt vmcnt(2) lgkmcnt(1)
	v_mul_f64 v[18:19], v[3:4], v[78:79]
	v_fma_f64 v[148:149], v[1:2], v[76:77], -v[18:19]
	v_mul_f64 v[1:2], v[1:2], v[78:79]
	v_add_f64 v[199:200], v[120:121], -v[148:149]
	v_fma_f64 v[150:151], v[3:4], v[76:77], v[1:2]
	v_add_f64 v[197:198], v[122:123], -v[150:151]
	v_add_f64 v[191:192], v[122:123], v[150:151]
	s_waitcnt vmcnt(1) lgkmcnt(0)
	v_mul_f64 v[0:1], v[7:8], v[98:99]
	v_fma_f64 v[152:153], v[5:6], v[96:97], -v[0:1]
	v_mul_f64 v[0:1], v[5:6], v[98:99]
	v_add_f64 v[183:184], v[116:117], -v[152:153]
	v_fma_f64 v[154:155], v[7:8], v[96:97], v[0:1]
	ds_read_b128 v[0:3], v35 offset:32448
	s_waitcnt vmcnt(0) lgkmcnt(0)
	s_barrier
	buffer_gl0_inv
	v_mul_f64 v[4:5], v[0:1], v[90:91]
	v_add_f64 v[181:182], v[118:119], -v[154:155]
	v_fma_f64 v[156:157], v[2:3], v[88:89], v[4:5]
	v_mul_f64 v[2:3], v[2:3], v[90:91]
	v_add_f64 v[104:105], v[16:17], v[156:157]
	v_fma_f64 v[158:159], v[0:1], v[88:89], -v[2:3]
	v_add_f64 v[0:1], v[16:17], -v[156:157]
	v_add_f64 v[22:23], v[9:10], v[158:159]
	v_mul_f64 v[2:3], v[0:1], s[26:27]
	v_mul_f64 v[4:5], v[0:1], s[24:25]
	;; [unrolled: 1-line block ×6, first 2 shown]
	v_fma_f64 v[24:25], v[22:23], s[20:21], -v[2:3]
	v_fma_f64 v[2:3], v[22:23], s[20:21], v[2:3]
	v_fma_f64 v[26:27], v[22:23], s[18:19], -v[4:5]
	v_fma_f64 v[4:5], v[22:23], s[18:19], v[4:5]
	;; [unrolled: 2-line block ×6, first 2 shown]
	v_add_f64 v[0:1], v[9:10], -v[158:159]
	v_add_f64 v[24:25], v[12:13], v[24:25]
	v_add_f64 v[112:113], v[12:13], v[4:5]
	;; [unrolled: 1-line block ×3, first 2 shown]
	v_mul_f64 v[31:32], v[197:198], s[14:15]
	v_add_f64 v[203:204], v[12:13], v[38:39]
	v_add_f64 v[195:196], v[12:13], v[40:41]
	;; [unrolled: 1-line block ×5, first 2 shown]
	v_mul_f64 v[6:7], v[0:1], s[26:27]
	v_mul_f64 v[18:19], v[0:1], s[24:25]
	;; [unrolled: 1-line block ×6, first 2 shown]
	v_fma_f64 v[106:107], v[104:105], s[20:21], v[6:7]
	v_fma_f64 v[110:111], v[104:105], s[18:19], -v[18:19]
	v_fma_f64 v[108:109], v[104:105], s[18:19], v[18:19]
	v_fma_f64 v[164:165], v[104:105], s[16:17], v[100:101]
	;; [unrolled: 1-line block ×3, first 2 shown]
	v_fma_f64 v[170:171], v[104:105], s[28:29], -v[0:1]
	v_fma_f64 v[168:169], v[104:105], s[28:29], v[0:1]
	v_add_f64 v[18:19], v[12:13], v[26:27]
	v_fma_f64 v[6:7], v[104:105], s[20:21], -v[6:7]
	v_fma_f64 v[114:115], v[104:105], s[8:9], v[46:47]
	v_fma_f64 v[46:47], v[104:105], s[8:9], -v[46:47]
	v_fma_f64 v[100:101], v[104:105], s[16:17], -v[100:101]
	;; [unrolled: 1-line block ×3, first 2 shown]
	v_add_f64 v[26:27], v[128:129], -v[140:141]
	v_add_f64 v[189:190], v[14:15], v[106:107]
	v_add_f64 v[10:11], v[14:15], v[110:111]
	v_mul_f64 v[110:111], v[183:184], s[24:25]
	v_add_f64 v[106:107], v[12:13], v[2:3]
	v_add_f64 v[185:186], v[14:15], v[166:167]
	;; [unrolled: 1-line block ×10, first 2 shown]
	v_mul_f64 v[108:109], v[181:182], s[24:25]
	v_add_f64 v[104:105], v[14:15], v[6:7]
	v_add_f64 v[6:7], v[14:15], v[114:115]
	;; [unrolled: 1-line block ×5, first 2 shown]
	v_mul_f64 v[36:37], v[199:200], s[14:15]
	v_mul_f64 v[46:47], v[26:27], s[12:13]
	;; [unrolled: 1-line block ×3, first 2 shown]
	v_fma_f64 v[12:13], v[170:171], s[18:19], v[110:111]
	v_fma_f64 v[4:5], v[168:169], s[18:19], -v[108:109]
	v_add_f64 v[12:13], v[12:13], v[189:190]
	v_add_f64 v[189:190], v[120:121], v[148:149]
	;; [unrolled: 1-line block ×3, first 2 shown]
	v_fma_f64 v[14:15], v[189:190], s[8:9], -v[31:32]
	v_fma_f64 v[31:32], v[189:190], s[8:9], v[31:32]
	v_add_f64 v[4:5], v[14:15], v[4:5]
	v_fma_f64 v[14:15], v[191:192], s[8:9], v[36:37]
	v_fma_f64 v[36:37], v[191:192], s[8:9], -v[36:37]
	v_add_f64 v[20:21], v[14:15], v[12:13]
	v_add_f64 v[12:13], v[126:127], -v[146:147]
	v_mul_f64 v[38:39], v[12:13], s[6:7]
	v_fma_f64 v[14:15], v[205:206], s[16:17], -v[38:39]
	v_fma_f64 v[38:39], v[205:206], s[16:17], v[38:39]
	v_add_f64 v[22:23], v[14:15], v[4:5]
	v_add_f64 v[14:15], v[124:125], -v[144:145]
	v_add_f64 v[4:5], v[126:127], v[146:147]
	v_mul_f64 v[40:41], v[14:15], s[6:7]
	v_fma_f64 v[24:25], v[4:5], s[16:17], v[40:41]
	v_add_f64 v[42:43], v[24:25], v[20:21]
	v_add_f64 v[24:25], v[130:131], -v[142:143]
	v_mul_f64 v[44:45], v[24:25], s[12:13]
	v_fma_f64 v[20:21], v[207:208], s[22:23], -v[44:45]
	v_add_f64 v[22:23], v[20:21], v[22:23]
	v_add_f64 v[20:21], v[130:131], v[142:143]
	v_fma_f64 v[100:101], v[20:21], s[22:23], v[46:47]
	v_add_f64 v[42:43], v[100:101], v[42:43]
	v_fma_f64 v[100:101], v[209:210], s[28:29], -v[114:115]
	v_add_f64 v[100:101], v[100:101], v[22:23]
	v_add_f64 v[22:23], v[134:135], v[138:139]
	v_fma_f64 v[102:103], v[22:23], s[28:29], v[215:216]
	v_add_f64 v[102:103], v[102:103], v[42:43]
	v_fma_f64 v[42:43], v[168:169], s[18:19], v[108:109]
	v_add_f64 v[42:43], v[42:43], v[106:107]
	v_fma_f64 v[106:107], v[170:171], s[18:19], -v[110:111]
	v_add_f64 v[31:32], v[31:32], v[42:43]
	v_add_f64 v[104:105], v[106:107], v[104:105]
	;; [unrolled: 1-line block ×4, first 2 shown]
	v_fma_f64 v[38:39], v[4:5], s[16:17], -v[40:41]
	v_fma_f64 v[40:41], v[22:23], s[28:29], -v[215:216]
	v_mul_f64 v[215:216], v[211:212], s[36:37]
	v_add_f64 v[36:37], v[38:39], v[36:37]
	v_fma_f64 v[38:39], v[207:208], s[22:23], v[44:45]
	v_add_f64 v[31:32], v[38:39], v[31:32]
	v_fma_f64 v[38:39], v[20:21], s[22:23], -v[46:47]
	v_add_f64 v[36:37], v[38:39], v[36:37]
	v_fma_f64 v[38:39], v[209:210], s[28:29], v[114:115]
	v_mul_f64 v[114:115], v[26:27], s[34:35]
	v_add_f64 v[106:107], v[40:41], v[36:37]
	v_add_f64 v[104:105], v[38:39], v[31:32]
	v_mul_f64 v[31:32], v[181:182], s[6:7]
	v_fma_f64 v[36:37], v[168:169], s[16:17], -v[31:32]
	v_add_f64 v[18:19], v[36:37], v[18:19]
	v_mul_f64 v[36:37], v[183:184], s[6:7]
	v_fma_f64 v[38:39], v[170:171], s[16:17], v[36:37]
	v_add_f64 v[16:17], v[38:39], v[16:17]
	v_mul_f64 v[38:39], v[197:198], s[30:31]
	v_fma_f64 v[40:41], v[189:190], s[28:29], -v[38:39]
	v_add_f64 v[18:19], v[40:41], v[18:19]
	v_mul_f64 v[40:41], v[199:200], s[30:31]
	v_fma_f64 v[42:43], v[191:192], s[28:29], v[40:41]
	;; [unrolled: 6-line block ×3, first 2 shown]
	v_add_f64 v[16:17], v[46:47], v[16:17]
	v_mul_f64 v[46:47], v[24:25], s[34:35]
	v_fma_f64 v[108:109], v[207:208], s[8:9], -v[46:47]
	v_add_f64 v[18:19], v[108:109], v[18:19]
	v_fma_f64 v[108:109], v[20:21], s[8:9], v[114:115]
	v_add_f64 v[16:17], v[108:109], v[16:17]
	v_fma_f64 v[108:109], v[209:210], s[20:21], -v[215:216]
	v_add_f64 v[108:109], v[108:109], v[18:19]
	v_mul_f64 v[18:19], v[213:214], s[36:37]
	v_fma_f64 v[110:111], v[22:23], s[20:21], v[18:19]
	v_fma_f64 v[18:19], v[22:23], s[20:21], -v[18:19]
	v_add_f64 v[110:111], v[110:111], v[16:17]
	v_fma_f64 v[16:17], v[168:169], s[16:17], v[31:32]
	v_fma_f64 v[31:32], v[170:171], s[16:17], -v[36:37]
	v_add_f64 v[16:17], v[16:17], v[112:113]
	v_add_f64 v[10:11], v[31:32], v[10:11]
	v_fma_f64 v[31:32], v[189:190], s[28:29], v[38:39]
	v_add_f64 v[16:17], v[31:32], v[16:17]
	v_fma_f64 v[31:32], v[191:192], s[28:29], -v[40:41]
	v_add_f64 v[10:11], v[31:32], v[10:11]
	v_fma_f64 v[31:32], v[205:206], s[22:23], v[42:43]
	v_add_f64 v[16:17], v[31:32], v[16:17]
	v_fma_f64 v[31:32], v[4:5], s[22:23], -v[44:45]
	v_add_f64 v[10:11], v[31:32], v[10:11]
	v_fma_f64 v[31:32], v[207:208], s[8:9], v[46:47]
	v_mul_f64 v[46:47], v[211:212], s[12:13]
	v_add_f64 v[16:17], v[31:32], v[16:17]
	v_fma_f64 v[31:32], v[20:21], s[8:9], -v[114:115]
	v_add_f64 v[10:11], v[31:32], v[10:11]
	v_fma_f64 v[31:32], v[209:210], s[20:21], v[215:216]
	v_mul_f64 v[215:216], v[213:214], s[12:13]
	v_add_f64 v[114:115], v[18:19], v[10:11]
	v_mul_f64 v[10:11], v[181:182], s[30:31]
	v_add_f64 v[112:113], v[31:32], v[16:17]
	v_fma_f64 v[16:17], v[168:169], s[28:29], -v[10:11]
	v_fma_f64 v[10:11], v[168:169], s[28:29], v[10:11]
	v_add_f64 v[8:9], v[16:17], v[8:9]
	v_mul_f64 v[16:17], v[183:184], s[30:31]
	v_add_f64 v[2:3], v[10:11], v[2:3]
	v_fma_f64 v[18:19], v[170:171], s[28:29], v[16:17]
	v_fma_f64 v[10:11], v[170:171], s[28:29], -v[16:17]
	v_fma_f64 v[16:17], v[22:23], s[22:23], -v[215:216]
	v_add_f64 v[6:7], v[18:19], v[6:7]
	v_mul_f64 v[18:19], v[197:198], s[40:41]
	v_add_f64 v[0:1], v[10:11], v[0:1]
	v_fma_f64 v[31:32], v[189:190], s[16:17], -v[18:19]
	v_fma_f64 v[10:11], v[189:190], s[16:17], v[18:19]
	v_add_f64 v[8:9], v[31:32], v[8:9]
	v_mul_f64 v[31:32], v[199:200], s[40:41]
	v_add_f64 v[2:3], v[10:11], v[2:3]
	v_fma_f64 v[36:37], v[191:192], s[16:17], v[31:32]
	v_fma_f64 v[10:11], v[191:192], s[16:17], -v[31:32]
	v_mul_f64 v[31:32], v[183:184], s[38:39]
	v_add_f64 v[6:7], v[36:37], v[6:7]
	v_mul_f64 v[36:37], v[12:13], s[36:37]
	v_add_f64 v[0:1], v[10:11], v[0:1]
	v_fma_f64 v[18:19], v[170:171], s[22:23], v[31:32]
	v_fma_f64 v[31:32], v[170:171], s[22:23], -v[31:32]
	v_fma_f64 v[38:39], v[205:206], s[20:21], -v[36:37]
	v_fma_f64 v[10:11], v[205:206], s[20:21], v[36:37]
	v_mul_f64 v[36:37], v[197:198], s[36:37]
	v_add_f64 v[18:19], v[18:19], v[201:202]
	v_add_f64 v[31:32], v[31:32], v[193:194]
	;; [unrolled: 1-line block ×3, first 2 shown]
	v_mul_f64 v[38:39], v[14:15], s[36:37]
	v_add_f64 v[2:3], v[10:11], v[2:3]
	v_fma_f64 v[40:41], v[4:5], s[20:21], v[38:39]
	v_fma_f64 v[10:11], v[4:5], s[20:21], -v[38:39]
	v_fma_f64 v[38:39], v[189:190], s[20:21], -v[36:37]
	v_fma_f64 v[36:37], v[189:190], s[20:21], v[36:37]
	v_add_f64 v[6:7], v[40:41], v[6:7]
	v_mul_f64 v[40:41], v[24:25], s[24:25]
	v_add_f64 v[0:1], v[10:11], v[0:1]
	v_fma_f64 v[42:43], v[207:208], s[18:19], -v[40:41]
	v_fma_f64 v[10:11], v[207:208], s[18:19], v[40:41]
	v_add_f64 v[8:9], v[42:43], v[8:9]
	v_mul_f64 v[42:43], v[26:27], s[24:25]
	v_add_f64 v[2:3], v[10:11], v[2:3]
	v_fma_f64 v[10:11], v[20:21], s[18:19], -v[42:43]
	v_fma_f64 v[44:45], v[20:21], s[18:19], v[42:43]
	v_add_f64 v[10:11], v[10:11], v[0:1]
	v_fma_f64 v[0:1], v[209:210], s[22:23], v[46:47]
	v_add_f64 v[44:45], v[44:45], v[6:7]
	v_fma_f64 v[6:7], v[209:210], s[22:23], -v[46:47]
	v_add_f64 v[0:1], v[0:1], v[2:3]
	v_add_f64 v[2:3], v[16:17], v[10:11]
	v_mul_f64 v[10:11], v[181:182], s[38:39]
	v_add_f64 v[6:7], v[6:7], v[8:9]
	v_fma_f64 v[8:9], v[22:23], s[22:23], v[215:216]
	v_fma_f64 v[16:17], v[168:169], s[22:23], -v[10:11]
	v_fma_f64 v[10:11], v[168:169], s[22:23], v[10:11]
	v_add_f64 v[8:9], v[8:9], v[44:45]
	v_add_f64 v[16:17], v[16:17], v[203:204]
	;; [unrolled: 1-line block ×4, first 2 shown]
	v_mul_f64 v[38:39], v[199:200], s[36:37]
	v_add_f64 v[10:11], v[36:37], v[10:11]
	v_fma_f64 v[40:41], v[191:192], s[20:21], v[38:39]
	v_fma_f64 v[36:37], v[191:192], s[20:21], -v[38:39]
	v_add_f64 v[18:19], v[40:41], v[18:19]
	v_mul_f64 v[40:41], v[12:13], s[14:15]
	v_add_f64 v[31:32], v[36:37], v[31:32]
	v_fma_f64 v[42:43], v[205:206], s[8:9], -v[40:41]
	v_fma_f64 v[36:37], v[205:206], s[8:9], v[40:41]
	v_mul_f64 v[40:41], v[197:198], s[24:25]
	v_add_f64 v[16:17], v[42:43], v[16:17]
	v_mul_f64 v[42:43], v[14:15], s[14:15]
	v_add_f64 v[10:11], v[36:37], v[10:11]
	v_fma_f64 v[44:45], v[4:5], s[8:9], v[42:43]
	v_fma_f64 v[36:37], v[4:5], s[8:9], -v[42:43]
	v_fma_f64 v[42:43], v[189:190], s[18:19], -v[40:41]
	v_add_f64 v[18:19], v[44:45], v[18:19]
	v_mul_f64 v[44:45], v[24:25], s[44:45]
	v_add_f64 v[31:32], v[36:37], v[31:32]
	v_fma_f64 v[46:47], v[207:208], s[28:29], -v[44:45]
	v_fma_f64 v[36:37], v[207:208], s[28:29], v[44:45]
	v_add_f64 v[16:17], v[46:47], v[16:17]
	v_mul_f64 v[46:47], v[26:27], s[44:45]
	v_add_f64 v[10:11], v[36:37], v[10:11]
	v_fma_f64 v[201:202], v[20:21], s[28:29], v[46:47]
	v_fma_f64 v[36:37], v[20:21], s[28:29], -v[46:47]
	v_add_f64 v[18:19], v[201:202], v[18:19]
	v_mul_f64 v[201:202], v[211:212], s[42:43]
	v_add_f64 v[31:32], v[36:37], v[31:32]
	v_fma_f64 v[203:204], v[209:210], s[18:19], -v[201:202]
	v_fma_f64 v[36:37], v[209:210], s[18:19], v[201:202]
	v_mul_f64 v[201:202], v[24:25], s[36:37]
	v_mul_f64 v[24:25], v[24:25], s[6:7]
	v_add_f64 v[16:17], v[203:204], v[16:17]
	v_mul_f64 v[203:204], v[213:214], s[42:43]
	v_add_f64 v[193:194], v[36:37], v[10:11]
	v_mul_f64 v[10:11], v[181:182], s[34:35]
	v_mul_f64 v[36:37], v[183:184], s[34:35]
	v_fma_f64 v[38:39], v[22:23], s[18:19], -v[203:204]
	v_fma_f64 v[215:216], v[22:23], s[18:19], v[203:204]
	v_mul_f64 v[203:204], v[26:27], s[36:37]
	v_mul_f64 v[26:27], v[26:27], s[6:7]
	v_add_f64 v[195:196], v[38:39], v[31:32]
	v_fma_f64 v[31:32], v[168:169], s[8:9], -v[10:11]
	v_fma_f64 v[38:39], v[170:171], s[8:9], v[36:37]
	v_add_f64 v[18:19], v[215:216], v[18:19]
	v_mul_f64 v[215:216], v[211:212], s[6:7]
	v_fma_f64 v[10:11], v[168:169], s[8:9], v[10:11]
	v_fma_f64 v[36:37], v[170:171], s[8:9], -v[36:37]
	v_add_f64 v[31:32], v[31:32], v[187:188]
	v_add_f64 v[38:39], v[38:39], v[185:186]
	;; [unrolled: 1-line block ×5, first 2 shown]
	v_mul_f64 v[42:43], v[199:200], s[24:25]
	v_fma_f64 v[44:45], v[191:192], s[18:19], v[42:43]
	v_add_f64 v[38:39], v[44:45], v[38:39]
	v_mul_f64 v[44:45], v[12:13], s[44:45]
	v_fma_f64 v[46:47], v[205:206], s[28:29], -v[44:45]
	v_add_f64 v[31:32], v[46:47], v[31:32]
	v_mul_f64 v[46:47], v[14:15], s[44:45]
	v_mul_f64 v[14:15], v[14:15], s[42:43]
	v_fma_f64 v[185:186], v[4:5], s[28:29], v[46:47]
	v_add_f64 v[38:39], v[185:186], v[38:39]
	v_fma_f64 v[185:186], v[207:208], s[20:21], -v[201:202]
	v_add_f64 v[31:32], v[185:186], v[31:32]
	v_fma_f64 v[185:186], v[20:21], s[20:21], v[203:204]
	v_add_f64 v[38:39], v[185:186], v[38:39]
	v_fma_f64 v[185:186], v[209:210], s[16:17], -v[215:216]
	v_add_f64 v[185:186], v[185:186], v[31:32]
	v_mul_f64 v[31:32], v[213:214], s[6:7]
	v_fma_f64 v[187:188], v[22:23], s[16:17], v[31:32]
	v_fma_f64 v[31:32], v[22:23], s[16:17], -v[31:32]
	v_add_f64 v[187:188], v[187:188], v[38:39]
	v_fma_f64 v[38:39], v[189:190], s[18:19], v[40:41]
	v_mul_f64 v[40:41], v[197:198], s[12:13]
	v_add_f64 v[10:11], v[38:39], v[10:11]
	v_fma_f64 v[38:39], v[191:192], s[18:19], -v[42:43]
	v_fma_f64 v[42:43], v[189:190], s[22:23], -v[40:41]
	v_fma_f64 v[40:41], v[189:190], s[22:23], v[40:41]
	v_add_f64 v[36:37], v[38:39], v[36:37]
	v_fma_f64 v[38:39], v[205:206], s[28:29], v[44:45]
	v_add_f64 v[10:11], v[38:39], v[10:11]
	v_fma_f64 v[38:39], v[4:5], s[28:29], -v[46:47]
	v_mul_f64 v[46:47], v[213:214], s[34:35]
	v_add_f64 v[36:37], v[38:39], v[36:37]
	v_fma_f64 v[38:39], v[207:208], s[20:21], v[201:202]
	v_add_f64 v[10:11], v[38:39], v[10:11]
	v_fma_f64 v[38:39], v[20:21], s[20:21], -v[203:204]
	v_add_f64 v[36:37], v[38:39], v[36:37]
	v_fma_f64 v[38:39], v[209:210], s[16:17], v[215:216]
	v_add_f64 v[178:179], v[31:32], v[36:37]
	v_mul_f64 v[31:32], v[181:182], s[36:37]
	v_add_f64 v[176:177], v[38:39], v[10:11]
	v_mul_f64 v[36:37], v[183:184], s[36:37]
	v_fma_f64 v[10:11], v[168:169], s[20:21], -v[31:32]
	v_fma_f64 v[31:32], v[168:169], s[20:21], v[31:32]
	v_fma_f64 v[38:39], v[170:171], s[20:21], v[36:37]
	v_fma_f64 v[36:37], v[170:171], s[20:21], -v[36:37]
	v_add_f64 v[10:11], v[10:11], v[174:175]
	v_add_f64 v[31:32], v[31:32], v[164:165]
	;; [unrolled: 1-line block ×5, first 2 shown]
	v_mul_f64 v[42:43], v[199:200], s[12:13]
	v_fma_f64 v[44:45], v[191:192], s[22:23], v[42:43]
	v_fma_f64 v[42:43], v[191:192], s[22:23], -v[42:43]
	v_add_f64 v[38:39], v[44:45], v[38:39]
	v_mul_f64 v[44:45], v[12:13], s[42:43]
	v_fma_f64 v[12:13], v[205:206], s[18:19], -v[44:45]
	v_fma_f64 v[44:45], v[205:206], s[18:19], v[44:45]
	v_add_f64 v[10:11], v[12:13], v[10:11]
	v_fma_f64 v[12:13], v[4:5], s[18:19], v[14:15]
	v_fma_f64 v[4:5], v[4:5], s[18:19], -v[14:15]
	v_add_f64 v[14:15], v[40:41], v[31:32]
	v_add_f64 v[31:32], v[42:43], v[36:37]
	;; [unrolled: 1-line block ×3, first 2 shown]
	v_fma_f64 v[38:39], v[207:208], s[16:17], -v[24:25]
	v_fma_f64 v[24:25], v[207:208], s[16:17], v[24:25]
	v_add_f64 v[4:5], v[4:5], v[31:32]
	v_add_f64 v[14:15], v[44:45], v[14:15]
	;; [unrolled: 1-line block ×3, first 2 shown]
	v_fma_f64 v[38:39], v[20:21], s[16:17], v[26:27]
	v_fma_f64 v[20:21], v[20:21], s[16:17], -v[26:27]
	v_add_f64 v[14:15], v[24:25], v[14:15]
	v_add_f64 v[12:13], v[38:39], v[12:13]
	v_mul_f64 v[38:39], v[211:212], s[34:35]
	v_add_f64 v[4:5], v[20:21], v[4:5]
	v_fma_f64 v[172:173], v[209:210], s[8:9], -v[38:39]
	v_fma_f64 v[26:27], v[209:210], s[8:9], v[38:39]
	v_add_f64 v[10:11], v[172:173], v[10:11]
	v_fma_f64 v[172:173], v[22:23], s[8:9], v[46:47]
	v_fma_f64 v[22:23], v[22:23], s[8:9], -v[46:47]
	v_add_f64 v[20:21], v[26:27], v[14:15]
	v_add_f64 v[14:15], v[162:163], v[118:119]
	;; [unrolled: 1-line block ×25, first 2 shown]
	v_mov_b32_e32 v4, 0xa9
	v_mul_u32_u24_sdwa v4, v30, v4 dst_sel:DWORD dst_unused:UNUSED_PAD src0_sel:WORD_0 src1_sel:DWORD
	v_add_lshl_u32 v38, v4, v29, 4
	ds_write_b128 v38, v[100:103] offset:208
	ds_write_b128 v38, v[108:111] offset:416
	;; [unrolled: 1-line block ×12, first 2 shown]
	ds_write_b128 v38, v[24:27]
	v_mad_u64_u32 v[0:1], null, 0xc0, v34, s[10:11]
	s_waitcnt lgkmcnt(0)
	s_barrier
	buffer_gl0_inv
	ds_read_b128 v[4:7], v35 offset:2704
	ds_read_b128 v[8:11], v35
	v_add_co_u32 v2, vcc_lo, 0x800, v0
	v_add_co_ci_u32_e32 v3, vcc_lo, 0, v1, vcc_lo
	v_add_co_u32 v12, vcc_lo, 0x9c0, v0
	v_add_co_ci_u32_e32 v13, vcc_lo, 0, v1, vcc_lo
	s_clause 0x3
	global_load_dwordx4 v[104:107], v[2:3], off offset:448
	global_load_dwordx4 v[100:103], v[12:13], off offset:48
	;; [unrolled: 1-line block ×4, first 2 shown]
	s_waitcnt vmcnt(3) lgkmcnt(1)
	v_mul_f64 v[14:15], v[6:7], v[106:107]
	v_fma_f64 v[16:17], v[4:5], v[104:105], -v[14:15]
	v_mul_f64 v[4:5], v[4:5], v[106:107]
	v_fma_f64 v[18:19], v[6:7], v[104:105], v[4:5]
	ds_read_b128 v[4:7], v35 offset:5408
	ds_read_b128 v[12:15], v35 offset:8112
	s_waitcnt vmcnt(1) lgkmcnt(1)
	v_mul_f64 v[20:21], v[6:7], v[118:119]
	v_fma_f64 v[160:161], v[4:5], v[116:117], -v[20:21]
	v_mul_f64 v[4:5], v[4:5], v[118:119]
	v_fma_f64 v[162:163], v[6:7], v[116:117], v[4:5]
	s_waitcnt vmcnt(0) lgkmcnt(0)
	v_mul_f64 v[4:5], v[14:15], v[114:115]
	v_fma_f64 v[164:165], v[12:13], v[112:113], -v[4:5]
	v_mul_f64 v[4:5], v[12:13], v[114:115]
	v_fma_f64 v[166:167], v[14:15], v[112:113], v[4:5]
	ds_read_b128 v[4:7], v35 offset:10816
	ds_read_b128 v[12:15], v35 offset:13520
	s_clause 0x1
	global_load_dwordx4 v[128:131], v[2:3], off offset:512
	global_load_dwordx4 v[108:111], v[2:3], off offset:576
	s_waitcnt lgkmcnt(1)
	v_mul_f64 v[20:21], v[6:7], v[102:103]
	v_fma_f64 v[168:169], v[4:5], v[100:101], -v[20:21]
	v_mul_f64 v[4:5], v[4:5], v[102:103]
	v_fma_f64 v[170:171], v[6:7], v[100:101], v[4:5]
	v_add_co_u32 v6, vcc_lo, 0xa00, v0
	v_add_co_ci_u32_e32 v7, vcc_lo, 0, v1, vcc_lo
	s_clause 0x1
	global_load_dwordx4 v[132:135], v[6:7], off offset:16
	global_load_dwordx4 v[124:127], v[6:7], off offset:32
	s_waitcnt vmcnt(3) lgkmcnt(0)
	v_mul_f64 v[2:3], v[14:15], v[130:131]
	v_fma_f64 v[172:173], v[12:13], v[128:129], -v[2:3]
	v_mul_f64 v[2:3], v[12:13], v[130:131]
	v_fma_f64 v[174:175], v[14:15], v[128:129], v[2:3]
	ds_read_b128 v[2:5], v35 offset:16224
	ds_read_b128 v[12:15], v35 offset:18928
	s_waitcnt vmcnt(1) lgkmcnt(1)
	v_mul_f64 v[20:21], v[4:5], v[134:135]
	v_fma_f64 v[176:177], v[2:3], v[132:133], -v[20:21]
	v_mul_f64 v[2:3], v[2:3], v[134:135]
	v_fma_f64 v[178:179], v[4:5], v[132:133], v[2:3]
	s_waitcnt vmcnt(0) lgkmcnt(0)
	v_mul_f64 v[2:3], v[14:15], v[126:127]
	v_fma_f64 v[181:182], v[12:13], v[124:125], -v[2:3]
	v_mul_f64 v[2:3], v[12:13], v[126:127]
	v_add_co_u32 v12, vcc_lo, 0xa40, v0
	v_add_co_ci_u32_e32 v13, vcc_lo, 0, v1, vcc_lo
	s_clause 0x1
	global_load_dwordx4 v[136:139], v[6:7], off offset:48
	global_load_dwordx4 v[120:123], v[12:13], off offset:16
	v_fma_f64 v[183:184], v[14:15], v[124:125], v[2:3]
	ds_read_b128 v[0:3], v35 offset:21632
	ds_read_b128 v[4:7], v35 offset:24336
	v_add_f64 v[227:228], v[178:179], -v[183:184]
	s_waitcnt vmcnt(1) lgkmcnt(1)
	v_mul_f64 v[14:15], v[2:3], v[138:139]
	v_fma_f64 v[185:186], v[0:1], v[136:137], -v[14:15]
	v_mul_f64 v[0:1], v[0:1], v[138:139]
	v_add_f64 v[223:224], v[172:173], -v[185:186]
	v_fma_f64 v[187:188], v[2:3], v[136:137], v[0:1]
	s_waitcnt lgkmcnt(0)
	v_mul_f64 v[0:1], v[6:7], v[110:111]
	v_mul_f64 v[49:50], v[223:224], s[12:13]
	v_fma_f64 v[189:190], v[4:5], v[108:109], -v[0:1]
	v_mul_f64 v[0:1], v[4:5], v[110:111]
	v_add_f64 v[249:250], v[168:169], v[189:190]
	v_fma_f64 v[191:192], v[6:7], v[108:109], v[0:1]
	ds_read_b128 v[0:3], v35 offset:27040
	ds_read_b128 v[4:7], v35 offset:29744
	s_clause 0x1
	global_load_dwordx4 v[144:147], v[12:13], off offset:32
	global_load_dwordx4 v[140:143], v[12:13], off offset:48
	s_waitcnt vmcnt(2) lgkmcnt(1)
	v_mul_f64 v[14:15], v[2:3], v[122:123]
	v_add_f64 v[251:252], v[170:171], v[191:192]
	v_fma_f64 v[193:194], v[0:1], v[120:121], -v[14:15]
	v_mul_f64 v[0:1], v[0:1], v[122:123]
	v_add_f64 v[233:234], v[164:165], v[193:194]
	v_fma_f64 v[195:196], v[2:3], v[120:121], v[0:1]
	v_add_f64 v[243:244], v[164:165], -v[193:194]
	v_add_f64 v[241:242], v[166:167], -v[195:196]
	v_add_f64 v[235:236], v[166:167], v[195:196]
	s_waitcnt vmcnt(1) lgkmcnt(0)
	v_mul_f64 v[0:1], v[6:7], v[146:147]
	v_fma_f64 v[197:198], v[4:5], v[144:145], -v[0:1]
	v_mul_f64 v[0:1], v[4:5], v[146:147]
	v_add_f64 v[225:226], v[160:161], -v[197:198]
	v_fma_f64 v[199:200], v[6:7], v[144:145], v[0:1]
	ds_read_b128 v[0:3], v35 offset:32448
	s_waitcnt vmcnt(0) lgkmcnt(0)
	v_mul_f64 v[4:5], v[0:1], v[142:143]
	v_add_f64 v[221:222], v[162:163], -v[199:200]
	v_fma_f64 v[201:202], v[2:3], v[140:141], v[4:5]
	v_mul_f64 v[2:3], v[2:3], v[142:143]
	v_add_f64 v[150:151], v[18:19], v[201:202]
	v_fma_f64 v[203:204], v[0:1], v[140:141], -v[2:3]
	v_add_f64 v[0:1], v[18:19], -v[201:202]
	v_add_f64 v[20:21], v[16:17], v[203:204]
	v_mul_f64 v[2:3], v[0:1], s[26:27]
	v_mul_f64 v[4:5], v[0:1], s[24:25]
	;; [unrolled: 1-line block ×6, first 2 shown]
	v_fma_f64 v[22:23], v[20:21], s[20:21], -v[2:3]
	v_fma_f64 v[2:3], v[20:21], s[20:21], v[2:3]
	v_fma_f64 v[24:25], v[20:21], s[18:19], -v[4:5]
	v_fma_f64 v[4:5], v[20:21], s[18:19], v[4:5]
	v_fma_f64 v[26:27], v[20:21], s[8:9], -v[6:7]
	v_fma_f64 v[6:7], v[20:21], s[8:9], v[6:7]
	v_fma_f64 v[29:30], v[20:21], s[16:17], -v[12:13]
	v_fma_f64 v[12:13], v[20:21], s[16:17], v[12:13]
	v_fma_f64 v[41:42], v[20:21], s[22:23], -v[14:15]
	v_fma_f64 v[14:15], v[20:21], s[22:23], v[14:15]
	v_fma_f64 v[148:149], v[20:21], s[28:29], -v[0:1]
	v_fma_f64 v[0:1], v[20:21], s[28:29], v[0:1]
	v_add_f64 v[20:21], v[16:17], -v[203:204]
	v_add_f64 v[16:17], v[8:9], v[16:17]
	buffer_store_dword v16, off, s[48:51], 0 offset:216 ; 4-byte Folded Spill
	buffer_store_dword v17, off, s[48:51], 0 offset:220 ; 4-byte Folded Spill
	v_mul_f64 v[31:32], v[20:21], s[26:27]
	v_mul_f64 v[45:46], v[20:21], s[12:13]
	;; [unrolled: 1-line block ×6, first 2 shown]
	v_add_f64 v[16:17], v[10:11], v[18:19]
	v_add_f64 v[18:19], v[8:9], v[22:23]
	;; [unrolled: 1-line block ×4, first 2 shown]
	v_mul_f64 v[12:13], v[225:226], s[24:25]
	v_mul_f64 v[24:25], v[241:242], s[14:15]
	buffer_store_dword v16, off, s[48:51], 0 offset:224 ; 4-byte Folded Spill
	buffer_store_dword v17, off, s[48:51], 0 offset:228 ; 4-byte Folded Spill
	v_fma_f64 v[152:153], v[150:151], s[20:21], v[31:32]
	v_fma_f64 v[31:32], v[150:151], s[20:21], -v[31:32]
	v_fma_f64 v[213:214], v[150:151], s[22:23], v[45:46]
	v_fma_f64 v[209:210], v[150:151], s[16:17], v[43:44]
	v_fma_f64 v[215:216], v[150:151], s[22:23], -v[45:46]
	v_fma_f64 v[158:159], v[150:151], s[18:19], v[36:37]
	v_fma_f64 v[36:37], v[150:151], s[18:19], -v[36:37]
	v_fma_f64 v[205:206], v[150:151], s[8:9], v[39:40]
	v_fma_f64 v[207:208], v[150:151], s[8:9], -v[39:40]
	v_fma_f64 v[211:212], v[150:151], s[16:17], -v[43:44]
	v_fma_f64 v[217:218], v[150:151], s[28:29], v[20:21]
	v_fma_f64 v[150:151], v[150:151], s[28:29], -v[20:21]
	v_add_f64 v[16:17], v[8:9], v[4:5]
	v_add_f64 v[39:40], v[8:9], v[6:7]
	;; [unrolled: 1-line block ×6, first 2 shown]
	v_mul_f64 v[41:42], v[243:244], s[14:15]
	v_add_f64 v[6:7], v[174:175], -v[187:188]
	v_add_f64 v[4:5], v[174:175], v[187:188]
	v_add_f64 v[22:23], v[10:11], v[152:153]
	;; [unrolled: 1-line block ×6, first 2 shown]
	v_mul_f64 v[26:27], v[221:222], s[24:25]
	v_add_f64 v[245:246], v[10:11], v[209:210]
	v_add_f64 v[45:46], v[10:11], v[215:216]
	;; [unrolled: 1-line block ×12, first 2 shown]
	v_fma_f64 v[8:9], v[233:234], s[8:9], -v[24:25]
	v_add_f64 v[10:11], v[170:171], -v[191:192]
	v_fma_f64 v[29:30], v[4:5], s[22:23], v[49:50]
	v_fma_f64 v[24:25], v[233:234], s[8:9], v[24:25]
	v_fma_f64 v[0:1], v[213:214], s[18:19], -v[26:27]
	v_fma_f64 v[26:27], v[213:214], s[18:19], v[26:27]
	v_fma_f64 v[2:3], v[215:216], s[18:19], v[12:13]
	v_fma_f64 v[12:13], v[215:216], s[18:19], -v[12:13]
	v_mul_f64 v[205:206], v[10:11], s[6:7]
	v_add_f64 v[0:1], v[0:1], v[18:19]
	v_mul_f64 v[18:19], v[6:7], s[12:13]
	v_add_f64 v[26:27], v[26:27], v[152:153]
	v_add_f64 v[2:3], v[2:3], v[22:23]
	v_add_f64 v[12:13], v[12:13], v[154:155]
	v_add_f64 v[0:1], v[8:9], v[0:1]
	v_fma_f64 v[8:9], v[235:236], s[8:9], v[41:42]
	v_add_f64 v[24:25], v[24:25], v[26:27]
	v_fma_f64 v[26:27], v[235:236], s[8:9], -v[41:42]
	v_add_f64 v[2:3], v[8:9], v[2:3]
	v_fma_f64 v[8:9], v[249:250], s[16:17], -v[205:206]
	v_add_f64 v[12:13], v[26:27], v[12:13]
	v_fma_f64 v[26:27], v[249:250], s[16:17], v[205:206]
	v_mul_f64 v[205:206], v[223:224], s[34:35]
	v_add_f64 v[0:1], v[8:9], v[0:1]
	v_add_f64 v[8:9], v[168:169], -v[189:190]
	v_add_f64 v[24:25], v[26:27], v[24:25]
	v_mul_f64 v[207:208], v[8:9], s[6:7]
	v_fma_f64 v[14:15], v[251:252], s[16:17], v[207:208]
	v_fma_f64 v[26:27], v[251:252], s[16:17], -v[207:208]
	v_mul_f64 v[207:208], v[227:228], s[36:37]
	v_add_f64 v[22:23], v[14:15], v[2:3]
	v_add_f64 v[14:15], v[172:173], v[185:186]
	;; [unrolled: 1-line block ×3, first 2 shown]
	v_mul_f64 v[26:27], v[241:242], s[30:31]
	v_add_f64 v[150:151], v[29:30], v[22:23]
	v_fma_f64 v[2:3], v[14:15], s[22:23], -v[18:19]
	v_add_f64 v[22:23], v[176:177], v[181:182]
	v_mul_f64 v[28:29], v[227:228], s[30:31]
	v_fma_f64 v[18:19], v[14:15], s[22:23], v[18:19]
	v_add_f64 v[0:1], v[2:3], v[0:1]
	v_add_f64 v[2:3], v[178:179], v[183:184]
	v_fma_f64 v[30:31], v[22:23], s[28:29], -v[28:29]
	v_add_f64 v[18:19], v[18:19], v[24:25]
	v_fma_f64 v[24:25], v[4:5], s[22:23], -v[49:50]
	v_add_f64 v[148:149], v[30:31], v[0:1]
	v_add_f64 v[30:31], v[176:177], -v[181:182]
	v_add_f64 v[12:13], v[24:25], v[12:13]
	v_fma_f64 v[24:25], v[22:23], s[28:29], v[28:29]
	v_fma_f64 v[28:29], v[233:234], s[28:29], -v[26:27]
	v_mul_f64 v[0:1], v[30:31], s[30:31]
	v_add_f64 v[152:153], v[24:25], v[18:19]
	v_mul_f64 v[18:19], v[225:226], s[6:7]
	v_fma_f64 v[47:48], v[2:3], s[28:29], v[0:1]
	v_fma_f64 v[0:1], v[2:3], s[28:29], -v[0:1]
	v_fma_f64 v[24:25], v[215:216], s[16:17], v[18:19]
	v_add_f64 v[150:151], v[47:48], v[150:151]
	v_add_f64 v[154:155], v[0:1], v[12:13]
	v_mul_f64 v[0:1], v[221:222], s[6:7]
	v_add_f64 v[24:25], v[24:25], v[158:159]
	v_fma_f64 v[12:13], v[213:214], s[16:17], -v[0:1]
	v_fma_f64 v[0:1], v[213:214], s[16:17], v[0:1]
	v_add_f64 v[12:13], v[12:13], v[156:157]
	v_add_f64 v[0:1], v[0:1], v[16:17]
	v_fma_f64 v[16:17], v[215:216], s[16:17], -v[18:19]
	v_fma_f64 v[18:19], v[233:234], s[28:29], v[26:27]
	v_add_f64 v[12:13], v[28:29], v[12:13]
	v_mul_f64 v[28:29], v[243:244], s[30:31]
	v_add_f64 v[16:17], v[16:17], v[20:21]
	v_add_f64 v[0:1], v[18:19], v[0:1]
	v_mul_f64 v[20:21], v[241:242], s[40:41]
	v_fma_f64 v[41:42], v[235:236], s[28:29], v[28:29]
	v_fma_f64 v[18:19], v[235:236], s[28:29], -v[28:29]
	v_fma_f64 v[28:29], v[233:234], s[16:17], -v[20:21]
	v_add_f64 v[24:25], v[41:42], v[24:25]
	v_mul_f64 v[41:42], v[10:11], s[38:39]
	v_add_f64 v[16:17], v[18:19], v[16:17]
	v_fma_f64 v[47:48], v[249:250], s[22:23], -v[41:42]
	v_fma_f64 v[18:19], v[249:250], s[22:23], v[41:42]
	v_add_f64 v[12:13], v[47:48], v[12:13]
	v_mul_f64 v[47:48], v[8:9], s[38:39]
	v_add_f64 v[0:1], v[18:19], v[0:1]
	v_fma_f64 v[49:50], v[251:252], s[22:23], v[47:48]
	v_fma_f64 v[18:19], v[251:252], s[22:23], -v[47:48]
	v_add_f64 v[24:25], v[49:50], v[24:25]
	v_mul_f64 v[49:50], v[6:7], s[34:35]
	v_add_f64 v[16:17], v[18:19], v[16:17]
	v_fma_f64 v[156:157], v[14:15], s[8:9], -v[49:50]
	v_fma_f64 v[18:19], v[14:15], s[8:9], v[49:50]
	v_add_f64 v[12:13], v[156:157], v[12:13]
	v_fma_f64 v[156:157], v[4:5], s[8:9], v[205:206]
	v_add_f64 v[0:1], v[18:19], v[0:1]
	v_fma_f64 v[18:19], v[4:5], s[8:9], -v[205:206]
	v_add_f64 v[24:25], v[156:157], v[24:25]
	v_fma_f64 v[156:157], v[22:23], s[20:21], -v[207:208]
	v_add_f64 v[16:17], v[18:19], v[16:17]
	v_fma_f64 v[18:19], v[22:23], s[20:21], v[207:208]
	v_add_f64 v[156:157], v[156:157], v[12:13]
	v_mul_f64 v[12:13], v[30:31], s[36:37]
	v_fma_f64 v[158:159], v[2:3], s[20:21], v[12:13]
	v_fma_f64 v[12:13], v[2:3], s[20:21], -v[12:13]
	v_add_f64 v[158:159], v[158:159], v[24:25]
	v_add_f64 v[24:25], v[18:19], v[0:1]
	v_mul_f64 v[0:1], v[221:222], s[30:31]
	v_add_f64 v[26:27], v[12:13], v[16:17]
	v_mul_f64 v[16:17], v[225:226], s[30:31]
	v_fma_f64 v[12:13], v[213:214], s[28:29], -v[0:1]
	v_fma_f64 v[0:1], v[213:214], s[28:29], v[0:1]
	v_fma_f64 v[18:19], v[215:216], s[28:29], v[16:17]
	v_fma_f64 v[16:17], v[215:216], s[28:29], -v[16:17]
	v_add_f64 v[12:13], v[12:13], v[32:33]
	v_add_f64 v[0:1], v[0:1], v[39:40]
	;; [unrolled: 1-line block ×4, first 2 shown]
	v_mul_f64 v[253:254], v[227:228], s[42:43]
	v_add_f64 v[12:13], v[28:29], v[12:13]
	v_mul_f64 v[28:29], v[243:244], s[40:41]
	v_fma_f64 v[32:33], v[235:236], s[16:17], v[28:29]
	v_add_f64 v[18:19], v[32:33], v[18:19]
	v_mul_f64 v[32:33], v[10:11], s[36:37]
	v_fma_f64 v[36:37], v[249:250], s[20:21], -v[32:33]
	v_add_f64 v[12:13], v[36:37], v[12:13]
	v_mul_f64 v[36:37], v[8:9], s[36:37]
	v_fma_f64 v[41:42], v[251:252], s[20:21], v[36:37]
	v_add_f64 v[18:19], v[41:42], v[18:19]
	v_mul_f64 v[41:42], v[6:7], s[24:25]
	v_fma_f64 v[47:48], v[14:15], s[18:19], -v[41:42]
	v_add_f64 v[12:13], v[47:48], v[12:13]
	v_mul_f64 v[47:48], v[223:224], s[24:25]
	v_fma_f64 v[49:50], v[4:5], s[18:19], v[47:48]
	v_add_f64 v[18:19], v[49:50], v[18:19]
	v_mul_f64 v[49:50], v[227:228], s[12:13]
	v_fma_f64 v[205:206], v[22:23], s[22:23], -v[49:50]
	v_add_f64 v[205:206], v[205:206], v[12:13]
	v_mul_f64 v[12:13], v[30:31], s[12:13]
	v_fma_f64 v[207:208], v[2:3], s[22:23], v[12:13]
	v_fma_f64 v[12:13], v[2:3], s[22:23], -v[12:13]
	v_add_f64 v[207:208], v[207:208], v[18:19]
	v_fma_f64 v[18:19], v[233:234], s[16:17], v[20:21]
	v_mul_f64 v[20:21], v[241:242], s[36:37]
	v_add_f64 v[0:1], v[18:19], v[0:1]
	v_fma_f64 v[18:19], v[235:236], s[16:17], -v[28:29]
	v_fma_f64 v[28:29], v[233:234], s[20:21], -v[20:21]
	v_add_f64 v[16:17], v[18:19], v[16:17]
	v_fma_f64 v[18:19], v[249:250], s[20:21], v[32:33]
	v_add_f64 v[0:1], v[18:19], v[0:1]
	v_fma_f64 v[18:19], v[251:252], s[20:21], -v[36:37]
	v_add_f64 v[16:17], v[18:19], v[16:17]
	v_fma_f64 v[18:19], v[14:15], s[18:19], v[41:42]
	v_add_f64 v[0:1], v[18:19], v[0:1]
	;; [unrolled: 4-line block ×3, first 2 shown]
	v_add_f64 v[39:40], v[18:19], v[0:1]
	v_mul_f64 v[0:1], v[221:222], s[38:39]
	v_mul_f64 v[16:17], v[225:226], s[38:39]
	v_fma_f64 v[12:13], v[213:214], s[22:23], -v[0:1]
	v_fma_f64 v[18:19], v[215:216], s[22:23], v[16:17]
	v_fma_f64 v[0:1], v[213:214], s[22:23], v[0:1]
	v_fma_f64 v[16:17], v[215:216], s[22:23], -v[16:17]
	v_add_f64 v[12:13], v[12:13], v[247:248]
	v_add_f64 v[18:19], v[18:19], v[245:246]
	v_add_f64 v[0:1], v[0:1], v[239:240]
	v_add_f64 v[16:17], v[16:17], v[237:238]
	v_add_f64 v[12:13], v[28:29], v[12:13]
	v_mul_f64 v[28:29], v[243:244], s[36:37]
	v_fma_f64 v[32:33], v[235:236], s[20:21], v[28:29]
	v_add_f64 v[18:19], v[32:33], v[18:19]
	v_mul_f64 v[32:33], v[10:11], s[14:15]
	v_fma_f64 v[36:37], v[249:250], s[8:9], -v[32:33]
	v_add_f64 v[12:13], v[36:37], v[12:13]
	v_mul_f64 v[36:37], v[8:9], s[14:15]
	v_fma_f64 v[47:48], v[251:252], s[8:9], v[36:37]
	v_add_f64 v[18:19], v[47:48], v[18:19]
	v_mul_f64 v[47:48], v[6:7], s[44:45]
	v_fma_f64 v[49:50], v[14:15], s[28:29], -v[47:48]
	v_add_f64 v[12:13], v[49:50], v[12:13]
	v_mul_f64 v[49:50], v[223:224], s[44:45]
	v_fma_f64 v[245:246], v[4:5], s[28:29], v[49:50]
	v_add_f64 v[18:19], v[245:246], v[18:19]
	v_fma_f64 v[245:246], v[22:23], s[18:19], -v[253:254]
	v_add_f64 v[245:246], v[245:246], v[12:13]
	v_mul_f64 v[12:13], v[30:31], s[42:43]
	v_fma_f64 v[247:248], v[2:3], s[18:19], v[12:13]
	v_fma_f64 v[12:13], v[2:3], s[18:19], -v[12:13]
	v_add_f64 v[247:248], v[247:248], v[18:19]
	v_fma_f64 v[18:19], v[233:234], s[20:21], v[20:21]
	v_mul_f64 v[20:21], v[241:242], s[24:25]
	v_add_f64 v[0:1], v[18:19], v[0:1]
	v_fma_f64 v[18:19], v[235:236], s[20:21], -v[28:29]
	v_fma_f64 v[28:29], v[233:234], s[18:19], -v[20:21]
	v_add_f64 v[16:17], v[18:19], v[16:17]
	v_fma_f64 v[18:19], v[249:250], s[8:9], v[32:33]
	v_add_f64 v[0:1], v[18:19], v[0:1]
	v_fma_f64 v[18:19], v[251:252], s[8:9], -v[36:37]
	v_add_f64 v[16:17], v[18:19], v[16:17]
	v_fma_f64 v[18:19], v[14:15], s[28:29], v[47:48]
	v_add_f64 v[0:1], v[18:19], v[0:1]
	v_fma_f64 v[18:19], v[4:5], s[28:29], -v[49:50]
	v_add_f64 v[16:17], v[18:19], v[16:17]
	v_fma_f64 v[18:19], v[22:23], s[18:19], v[253:254]
	v_mul_f64 v[253:254], v[227:228], s[6:7]
	v_add_f64 v[239:240], v[12:13], v[16:17]
	v_add_f64 v[237:238], v[18:19], v[0:1]
	v_mul_f64 v[0:1], v[221:222], s[34:35]
	v_mul_f64 v[16:17], v[225:226], s[34:35]
	v_fma_f64 v[12:13], v[213:214], s[8:9], -v[0:1]
	v_fma_f64 v[18:19], v[215:216], s[8:9], v[16:17]
	v_fma_f64 v[0:1], v[213:214], s[8:9], v[0:1]
	v_fma_f64 v[16:17], v[215:216], s[8:9], -v[16:17]
	v_add_f64 v[12:13], v[12:13], v[231:232]
	v_add_f64 v[18:19], v[18:19], v[229:230]
	;; [unrolled: 1-line block ×5, first 2 shown]
	v_mul_f64 v[28:29], v[243:244], s[24:25]
	v_fma_f64 v[32:33], v[235:236], s[18:19], v[28:29]
	v_add_f64 v[18:19], v[32:33], v[18:19]
	v_mul_f64 v[32:33], v[10:11], s[44:45]
	v_fma_f64 v[36:37], v[249:250], s[28:29], -v[32:33]
	v_add_f64 v[12:13], v[36:37], v[12:13]
	v_mul_f64 v[36:37], v[8:9], s[44:45]
	v_fma_f64 v[47:48], v[251:252], s[28:29], v[36:37]
	v_add_f64 v[18:19], v[47:48], v[18:19]
	v_mul_f64 v[47:48], v[6:7], s[36:37]
	v_mul_f64 v[6:7], v[6:7], s[6:7]
	v_fma_f64 v[49:50], v[14:15], s[20:21], -v[47:48]
	v_add_f64 v[12:13], v[49:50], v[12:13]
	v_mul_f64 v[49:50], v[223:224], s[36:37]
	v_fma_f64 v[229:230], v[4:5], s[20:21], v[49:50]
	v_add_f64 v[18:19], v[229:230], v[18:19]
	v_fma_f64 v[229:230], v[22:23], s[16:17], -v[253:254]
	v_add_f64 v[229:230], v[229:230], v[12:13]
	v_mul_f64 v[12:13], v[30:31], s[6:7]
	v_mul_f64 v[30:31], v[30:31], s[34:35]
	v_fma_f64 v[231:232], v[2:3], s[16:17], v[12:13]
	v_fma_f64 v[12:13], v[2:3], s[16:17], -v[12:13]
	v_add_f64 v[231:232], v[231:232], v[18:19]
	v_fma_f64 v[18:19], v[233:234], s[18:19], v[20:21]
	v_mul_f64 v[20:21], v[225:226], s[36:37]
	v_add_f64 v[0:1], v[18:19], v[0:1]
	v_fma_f64 v[18:19], v[235:236], s[18:19], -v[28:29]
	v_fma_f64 v[28:29], v[215:216], s[20:21], v[20:21]
	v_fma_f64 v[20:21], v[215:216], s[20:21], -v[20:21]
	v_add_f64 v[16:17], v[18:19], v[16:17]
	v_fma_f64 v[18:19], v[249:250], s[28:29], v[32:33]
	v_mul_f64 v[32:33], v[241:242], s[12:13]
	v_add_f64 v[28:29], v[28:29], v[217:218]
	v_add_f64 v[20:21], v[20:21], v[211:212]
	;; [unrolled: 1-line block ×3, first 2 shown]
	v_fma_f64 v[18:19], v[251:252], s[28:29], -v[36:37]
	v_fma_f64 v[36:37], v[233:234], s[22:23], -v[32:33]
	v_fma_f64 v[32:33], v[233:234], s[22:23], v[32:33]
	v_add_f64 v[16:17], v[18:19], v[16:17]
	v_fma_f64 v[18:19], v[14:15], s[20:21], v[47:48]
	v_mul_f64 v[47:48], v[227:228], s[34:35]
	v_add_f64 v[0:1], v[18:19], v[0:1]
	v_fma_f64 v[18:19], v[4:5], s[20:21], -v[49:50]
	v_add_f64 v[18:19], v[18:19], v[16:17]
	v_fma_f64 v[16:17], v[22:23], s[16:17], v[253:254]
	v_add_f64 v[18:19], v[12:13], v[18:19]
	v_add_f64 v[16:17], v[16:17], v[0:1]
	v_mul_f64 v[0:1], v[221:222], s[36:37]
	v_fma_f64 v[12:13], v[213:214], s[20:21], -v[0:1]
	v_fma_f64 v[0:1], v[213:214], s[20:21], v[0:1]
	v_add_f64 v[12:13], v[12:13], v[219:220]
	v_add_f64 v[0:1], v[0:1], v[209:210]
	;; [unrolled: 1-line block ×3, first 2 shown]
	v_mul_f64 v[36:37], v[243:244], s[12:13]
	v_add_f64 v[0:1], v[32:33], v[0:1]
	v_fma_f64 v[43:44], v[235:236], s[22:23], v[36:37]
	v_fma_f64 v[36:37], v[235:236], s[22:23], -v[36:37]
	v_add_f64 v[28:29], v[43:44], v[28:29]
	v_mul_f64 v[43:44], v[10:11], s[42:43]
	v_add_f64 v[20:21], v[36:37], v[20:21]
	v_fma_f64 v[10:11], v[249:250], s[18:19], -v[43:44]
	v_fma_f64 v[43:44], v[249:250], s[18:19], v[43:44]
	v_add_f64 v[10:11], v[10:11], v[12:13]
	v_mul_f64 v[12:13], v[8:9], s[42:43]
	v_add_f64 v[0:1], v[43:44], v[0:1]
	v_fma_f64 v[8:9], v[251:252], s[18:19], v[12:13]
	v_fma_f64 v[12:13], v[251:252], s[18:19], -v[12:13]
	v_add_f64 v[8:9], v[8:9], v[28:29]
	v_fma_f64 v[28:29], v[14:15], s[16:17], -v[6:7]
	v_add_f64 v[12:13], v[12:13], v[20:21]
	v_fma_f64 v[6:7], v[14:15], s[16:17], v[6:7]
	v_fma_f64 v[14:15], v[22:23], s[8:9], v[47:48]
	v_add_f64 v[10:11], v[28:29], v[10:11]
	v_mul_f64 v[28:29], v[223:224], s[6:7]
	v_add_f64 v[0:1], v[6:7], v[0:1]
	v_fma_f64 v[45:46], v[4:5], s[16:17], v[28:29]
	v_fma_f64 v[4:5], v[4:5], s[16:17], -v[28:29]
	v_add_f64 v[0:1], v[14:15], v[0:1]
	v_add_f64 v[45:46], v[45:46], v[8:9]
	v_fma_f64 v[8:9], v[22:23], s[8:9], -v[47:48]
	v_add_f64 v[4:5], v[4:5], v[12:13]
	v_add_f64 v[8:9], v[8:9], v[10:11]
	v_fma_f64 v[10:11], v[2:3], s[8:9], v[30:31]
	v_fma_f64 v[2:3], v[2:3], s[8:9], -v[30:31]
	v_add_f64 v[10:11], v[10:11], v[45:46]
	v_add_f64 v[2:3], v[2:3], v[4:5]
	s_clause 0x3
	buffer_load_dword v4, off, s[48:51], 0 offset:216
	buffer_load_dword v5, off, s[48:51], 0 offset:220
	;; [unrolled: 1-line block ×4, first 2 shown]
	s_waitcnt vmcnt(2)
	v_add_f64 v[4:5], v[4:5], v[160:161]
	s_waitcnt vmcnt(0)
	v_add_f64 v[6:7], v[6:7], v[162:163]
	v_add_f64 v[4:5], v[4:5], v[164:165]
	v_add_f64 v[6:7], v[6:7], v[166:167]
	v_add_f64 v[4:5], v[4:5], v[168:169]
	v_add_f64 v[6:7], v[6:7], v[170:171]
	v_add_f64 v[4:5], v[4:5], v[172:173]
	v_add_f64 v[6:7], v[6:7], v[174:175]
	v_add_f64 v[4:5], v[4:5], v[176:177]
	v_add_f64 v[6:7], v[6:7], v[178:179]
	v_add_f64 v[4:5], v[4:5], v[181:182]
	v_add_f64 v[6:7], v[6:7], v[183:184]
	v_add_f64 v[4:5], v[4:5], v[185:186]
	v_add_f64 v[6:7], v[6:7], v[187:188]
	v_add_f64 v[4:5], v[4:5], v[189:190]
	v_add_f64 v[6:7], v[6:7], v[191:192]
	v_add_f64 v[4:5], v[4:5], v[193:194]
	v_add_f64 v[6:7], v[6:7], v[195:196]
	v_add_f64 v[4:5], v[4:5], v[197:198]
	v_add_f64 v[6:7], v[6:7], v[199:200]
	v_add_f64 v[12:13], v[4:5], v[203:204]
	v_add_f64 v[14:15], v[6:7], v[201:202]
	ds_write_b128 v35, v[148:151] offset:2704
	ds_write_b128 v35, v[156:159] offset:5408
	;; [unrolled: 1-line block ×12, first 2 shown]
	ds_write_b128 v35, v[12:15]
	v_add_co_u32 v0, vcc_lo, 0x8800, v255
	v_add_co_ci_u32_e32 v1, vcc_lo, 0, v180, vcc_lo
	v_add_co_u32 v4, vcc_lo, 0x9000, v255
	v_add_co_ci_u32_e32 v5, vcc_lo, 0, v180, vcc_lo
	s_waitcnt lgkmcnt(0)
	s_waitcnt_vscnt null, 0x0
	s_barrier
	buffer_gl0_inv
	s_clause 0x1
	global_load_dwordx4 v[0:3], v[0:1], off offset:336
	global_load_dwordx4 v[4:7], v[4:5], off offset:992
	ds_read_b128 v[8:11], v35
	ds_read_b128 v[12:15], v35 offset:2704
	s_waitcnt vmcnt(1) lgkmcnt(1)
	v_mul_f64 v[16:17], v[10:11], v[2:3]
	v_mul_f64 v[2:3], v[8:9], v[2:3]
	v_fma_f64 v[148:149], v[8:9], v[0:1], -v[16:17]
	v_fma_f64 v[150:151], v[10:11], v[0:1], v[2:3]
	s_waitcnt vmcnt(0) lgkmcnt(0)
	v_mul_f64 v[0:1], v[14:15], v[6:7]
	v_mul_f64 v[2:3], v[12:13], v[6:7]
	v_fma_f64 v[152:153], v[12:13], v[4:5], -v[0:1]
	v_add_co_u32 v0, vcc_lo, 0x9800, v255
	v_add_co_ci_u32_e32 v1, vcc_lo, 0, v180, vcc_lo
	v_fma_f64 v[154:155], v[14:15], v[4:5], v[2:3]
	v_add_co_u32 v4, vcc_lo, 0xa800, v255
	v_add_co_ci_u32_e32 v5, vcc_lo, 0, v180, vcc_lo
	s_clause 0x1
	global_load_dwordx4 v[0:3], v[0:1], off offset:1648
	global_load_dwordx4 v[4:7], v[4:5], off offset:256
	ds_read_b128 v[8:11], v35 offset:5408
	ds_read_b128 v[12:15], v35 offset:8112
	s_waitcnt vmcnt(1) lgkmcnt(1)
	v_mul_f64 v[16:17], v[10:11], v[2:3]
	v_mul_f64 v[2:3], v[8:9], v[2:3]
	v_fma_f64 v[8:9], v[8:9], v[0:1], -v[16:17]
	v_fma_f64 v[10:11], v[10:11], v[0:1], v[2:3]
	s_waitcnt vmcnt(0) lgkmcnt(0)
	v_mul_f64 v[0:1], v[14:15], v[6:7]
	v_mul_f64 v[2:3], v[12:13], v[6:7]
	v_fma_f64 v[0:1], v[12:13], v[4:5], -v[0:1]
	v_fma_f64 v[2:3], v[14:15], v[4:5], v[2:3]
	v_add_co_u32 v4, vcc_lo, 0xb000, v255
	v_add_co_ci_u32_e32 v5, vcc_lo, 0, v180, vcc_lo
	v_add_co_u32 v12, vcc_lo, 0xb800, v255
	v_add_co_ci_u32_e32 v13, vcc_lo, 0, v180, vcc_lo
	s_clause 0x1
	global_load_dwordx4 v[4:7], v[4:5], off offset:912
	global_load_dwordx4 v[12:15], v[12:13], off offset:1568
	ds_read_b128 v[16:19], v35 offset:10816
	ds_read_b128 v[20:23], v35 offset:13520
	s_waitcnt vmcnt(1) lgkmcnt(1)
	v_mul_f64 v[24:25], v[18:19], v[6:7]
	v_mul_f64 v[6:7], v[16:17], v[6:7]
	v_fma_f64 v[16:17], v[16:17], v[4:5], -v[24:25]
	v_fma_f64 v[18:19], v[18:19], v[4:5], v[6:7]
	s_waitcnt vmcnt(0) lgkmcnt(0)
	v_mul_f64 v[4:5], v[22:23], v[14:15]
	v_mul_f64 v[6:7], v[20:21], v[14:15]
	v_fma_f64 v[4:5], v[20:21], v[12:13], -v[4:5]
	v_fma_f64 v[6:7], v[22:23], v[12:13], v[6:7]
	v_add_co_u32 v12, vcc_lo, 0xc800, v255
	v_add_co_ci_u32_e32 v13, vcc_lo, 0, v180, vcc_lo
	;; [unrolled: 19-line block ×3, first 2 shown]
	v_add_co_u32 v28, vcc_lo, 0xe800, v255
	v_add_co_ci_u32_e32 v29, vcc_lo, 0, v180, vcc_lo
	s_clause 0x1
	global_load_dwordx4 v[20:23], v[20:21], off offset:1488
	global_load_dwordx4 v[29:32], v[28:29], off offset:96
	ds_read_b128 v[39:42], v35 offset:21632
	ds_read_b128 v[43:46], v35 offset:24336
	v_add_co_u32 v28, vcc_lo, 0xf000, v255
	s_waitcnt vmcnt(1) lgkmcnt(1)
	v_mul_f64 v[36:37], v[41:42], v[22:23]
	v_mul_f64 v[22:23], v[39:40], v[22:23]
	v_fma_f64 v[39:40], v[39:40], v[20:21], -v[36:37]
	v_fma_f64 v[41:42], v[41:42], v[20:21], v[22:23]
	s_waitcnt vmcnt(0) lgkmcnt(0)
	v_mul_f64 v[20:21], v[45:46], v[31:32]
	v_mul_f64 v[22:23], v[43:44], v[31:32]
	v_fma_f64 v[20:21], v[43:44], v[29:30], -v[20:21]
	v_fma_f64 v[22:23], v[45:46], v[29:30], v[22:23]
	v_add_co_ci_u32_e32 v29, vcc_lo, 0, v180, vcc_lo
	v_add_co_u32 v36, vcc_lo, 0xf800, v255
	v_add_co_ci_u32_e32 v37, vcc_lo, 0, v180, vcc_lo
	s_clause 0x1
	global_load_dwordx4 v[29:32], v[28:29], off offset:752
	global_load_dwordx4 v[43:46], v[36:37], off offset:1408
	ds_read_b128 v[156:159], v35 offset:27040
	ds_read_b128 v[160:163], v35 offset:29744
	s_waitcnt vmcnt(1) lgkmcnt(1)
	v_mul_f64 v[36:37], v[158:159], v[31:32]
	v_mul_f64 v[31:32], v[156:157], v[31:32]
	v_fma_f64 v[156:157], v[156:157], v[29:30], -v[36:37]
	v_fma_f64 v[158:159], v[158:159], v[29:30], v[31:32]
	s_waitcnt vmcnt(0) lgkmcnt(0)
	v_mul_f64 v[28:29], v[162:163], v[45:46]
	v_mul_f64 v[31:32], v[160:161], v[45:46]
	v_add_co_u32 v36, vcc_lo, 0x10800, v255
	v_add_co_ci_u32_e32 v37, vcc_lo, 0, v180, vcc_lo
	v_fma_f64 v[29:30], v[160:161], v[43:44], -v[28:29]
	v_fma_f64 v[31:32], v[162:163], v[43:44], v[31:32]
	global_load_dwordx4 v[43:46], v[36:37], off offset:16
	ds_read_b128 v[160:163], v35 offset:32448
	s_waitcnt vmcnt(0) lgkmcnt(0)
	v_mul_f64 v[36:37], v[162:163], v[45:46]
	v_mul_f64 v[45:46], v[160:161], v[45:46]
	v_fma_f64 v[160:161], v[160:161], v[43:44], -v[36:37]
	v_fma_f64 v[162:163], v[162:163], v[43:44], v[45:46]
	ds_write_b128 v35, v[148:151]
	ds_write_b128 v35, v[152:155] offset:2704
	ds_write_b128 v35, v[8:11] offset:5408
	;; [unrolled: 1-line block ×12, first 2 shown]
	s_waitcnt lgkmcnt(0)
	s_barrier
	buffer_gl0_inv
	ds_read_b128 v[148:151], v35
	ds_read_b128 v[152:155], v35 offset:2704
	ds_read_b128 v[156:159], v35 offset:5408
	;; [unrolled: 1-line block ×7, first 2 shown]
	s_waitcnt lgkmcnt(6)
	v_add_f64 v[0:1], v[148:149], v[152:153]
	v_add_f64 v[2:3], v[150:151], v[154:155]
	s_waitcnt lgkmcnt(0)
	v_add_f64 v[183:184], v[174:175], v[178:179]
	v_add_f64 v[185:186], v[174:175], -v[178:179]
	v_add_f64 v[181:182], v[172:173], v[176:177]
	v_add_f64 v[0:1], v[0:1], v[156:157]
	;; [unrolled: 1-line block ×3, first 2 shown]
	v_mul_f64 v[233:234], v[185:186], s[36:37]
	v_add_f64 v[0:1], v[0:1], v[160:161]
	v_add_f64 v[2:3], v[2:3], v[162:163]
	;; [unrolled: 1-line block ×8, first 2 shown]
	v_add_f64 v[172:173], v[172:173], -v[176:177]
	v_add_f64 v[12:13], v[0:1], v[176:177]
	v_add_f64 v[14:15], v[2:3], v[178:179]
	ds_read_b128 v[0:3], v35 offset:21632
	ds_read_b128 v[4:7], v35 offset:24336
	s_waitcnt lgkmcnt(1)
	v_add_f64 v[174:175], v[168:169], v[0:1]
	v_add_f64 v[8:9], v[170:171], v[2:3]
	v_add_f64 v[168:169], v[168:169], -v[0:1]
	v_add_f64 v[10:11], v[170:171], -v[2:3]
	v_add_f64 v[0:1], v[12:13], v[0:1]
	v_add_f64 v[2:3], v[14:15], v[2:3]
	s_waitcnt lgkmcnt(0)
	v_add_f64 v[170:171], v[164:165], v[4:5]
	v_add_f64 v[187:188], v[166:167], v[6:7]
	v_add_f64 v[164:165], v[164:165], -v[4:5]
	v_add_f64 v[189:190], v[166:167], -v[6:7]
	v_mul_f64 v[199:200], v[8:9], s[22:23]
	v_mul_f64 v[231:232], v[8:9], s[8:9]
	;; [unrolled: 1-line block ×3, first 2 shown]
	v_add_f64 v[20:21], v[0:1], v[4:5]
	v_add_f64 v[22:23], v[2:3], v[6:7]
	ds_read_b128 v[4:7], v35 offset:27040
	ds_read_b128 v[12:15], v35 offset:29744
	v_mul_f64 v[195:196], v[187:188], s[16:17]
	v_mul_f64 v[229:230], v[10:11], s[34:35]
	s_waitcnt lgkmcnt(1)
	v_add_f64 v[0:1], v[160:161], v[4:5]
	v_add_f64 v[16:17], v[162:163], v[6:7]
	v_add_f64 v[2:3], v[160:161], -v[4:5]
	v_add_f64 v[18:19], v[162:163], -v[6:7]
	v_add_f64 v[4:5], v[20:21], v[4:5]
	v_add_f64 v[6:7], v[22:23], v[6:7]
	s_waitcnt lgkmcnt(0)
	v_add_f64 v[166:167], v[156:157], v[12:13]
	v_add_f64 v[201:202], v[158:159], v[14:15]
	v_add_f64 v[176:177], v[156:157], -v[12:13]
	v_add_f64 v[203:204], v[158:159], -v[14:15]
	v_add_f64 v[12:13], v[4:5], v[12:13]
	v_add_f64 v[14:15], v[6:7], v[14:15]
	ds_read_b128 v[4:7], v35 offset:32448
	s_waitcnt lgkmcnt(0)
	s_barrier
	buffer_gl0_inv
	v_add_f64 v[24:25], v[154:155], v[6:7]
	v_add_f64 v[20:21], v[154:155], -v[6:7]
	v_add_f64 v[26:27], v[152:153], -v[4:5]
	v_add_f64 v[22:23], v[152:153], v[4:5]
	v_add_f64 v[152:153], v[12:13], v[4:5]
	;; [unrolled: 1-line block ×3, first 2 shown]
	v_mul_f64 v[49:50], v[24:25], s[16:17]
	v_mul_f64 v[4:5], v[20:21], s[26:27]
	;; [unrolled: 1-line block ×8, first 2 shown]
	v_fma_f64 v[178:179], v[26:27], s[40:41], v[49:50]
	v_fma_f64 v[30:31], v[22:23], s[20:21], v[4:5]
	v_fma_f64 v[4:5], v[22:23], s[20:21], -v[4:5]
	v_fma_f64 v[32:33], v[22:23], s[18:19], v[6:7]
	v_fma_f64 v[36:37], v[22:23], s[18:19], -v[6:7]
	;; [unrolled: 2-line block ×6, first 2 shown]
	v_mul_f64 v[6:7], v[24:25], s[20:21]
	v_mul_f64 v[20:21], v[24:25], s[18:19]
	;; [unrolled: 1-line block ×4, first 2 shown]
	v_fma_f64 v[49:50], v[26:27], s[6:7], v[49:50]
	v_fma_f64 v[191:192], v[26:27], s[38:39], v[156:157]
	;; [unrolled: 1-line block ×3, first 2 shown]
	v_add_f64 v[221:222], v[150:151], v[178:179]
	v_mul_f64 v[178:179], v[203:204], s[24:25]
	v_add_f64 v[4:5], v[148:149], v[4:5]
	v_add_f64 v[32:33], v[148:149], v[32:33]
	;; [unrolled: 1-line block ×9, first 2 shown]
	v_mul_f64 v[43:44], v[18:19], s[30:31]
	v_add_f64 v[207:208], v[148:149], v[47:48]
	v_fma_f64 v[158:159], v[26:27], s[36:37], v[6:7]
	v_fma_f64 v[6:7], v[26:27], s[26:27], v[6:7]
	;; [unrolled: 1-line block ×8, first 2 shown]
	v_add_f64 v[26:27], v[148:149], v[30:31]
	v_add_f64 v[227:228], v[150:151], v[191:192]
	v_fma_f64 v[12:13], v[166:167], s[18:19], v[178:179]
	v_mul_f64 v[191:192], v[16:17], s[8:9]
	v_add_f64 v[49:50], v[150:151], v[49:50]
	v_add_f64 v[209:210], v[150:151], v[156:157]
	;; [unrolled: 1-line block ×10, first 2 shown]
	v_mul_f64 v[193:194], v[189:190], s[6:7]
	v_add_f64 v[22:23], v[148:149], v[45:46]
	v_add_f64 v[24:25], v[12:13], v[26:27]
	v_mul_f64 v[12:13], v[201:202], s[18:19]
	v_fma_f64 v[45:46], v[0:1], s[28:29], v[43:44]
	v_mul_f64 v[162:163], v[187:188], s[22:23]
	v_fma_f64 v[14:15], v[176:177], s[42:43], v[12:13]
	v_fma_f64 v[12:13], v[176:177], s[24:25], v[12:13]
	v_add_f64 v[26:27], v[14:15], v[30:31]
	v_mul_f64 v[14:15], v[18:19], s[14:15]
	v_add_f64 v[6:7], v[12:13], v[6:7]
	v_fma_f64 v[12:13], v[170:171], s[16:17], -v[193:194]
	v_fma_f64 v[28:29], v[0:1], s[8:9], v[14:15]
	v_add_f64 v[24:25], v[28:29], v[24:25]
	v_fma_f64 v[28:29], v[2:3], s[34:35], v[191:192]
	v_add_f64 v[26:27], v[28:29], v[26:27]
	;; [unrolled: 2-line block ×6, first 2 shown]
	v_mul_f64 v[24:25], v[185:186], s[30:31]
	v_fma_f64 v[26:27], v[181:182], s[28:29], v[24:25]
	v_add_f64 v[148:149], v[26:27], v[28:29]
	v_mul_f64 v[26:27], v[183:184], s[28:29]
	v_fma_f64 v[28:29], v[172:173], s[44:45], v[26:27]
	v_add_f64 v[150:151], v[28:29], v[30:31]
	v_mul_f64 v[28:29], v[203:204], s[6:7]
	v_fma_f64 v[30:31], v[166:167], s[16:17], v[28:29]
	v_fma_f64 v[28:29], v[166:167], s[16:17], -v[28:29]
	v_add_f64 v[30:31], v[30:31], v[32:33]
	v_mul_f64 v[32:33], v[201:202], s[16:17]
	v_add_f64 v[28:29], v[28:29], v[36:37]
	v_fma_f64 v[36:37], v[0:1], s[28:29], -v[43:44]
	v_mul_f64 v[43:44], v[16:17], s[16:17]
	v_add_f64 v[30:31], v[45:46], v[30:31]
	v_fma_f64 v[41:42], v[176:177], s[40:41], v[32:33]
	v_mul_f64 v[45:46], v[16:17], s[28:29]
	v_fma_f64 v[32:33], v[176:177], s[6:7], v[32:33]
	v_add_f64 v[28:29], v[36:37], v[28:29]
	v_add_f64 v[41:42], v[41:42], v[158:159]
	v_fma_f64 v[47:48], v[2:3], s[44:45], v[45:46]
	v_add_f64 v[32:33], v[32:33], v[160:161]
	v_fma_f64 v[36:37], v[2:3], s[30:31], v[45:46]
	v_mul_f64 v[45:46], v[189:190], s[36:37]
	v_add_f64 v[41:42], v[47:48], v[41:42]
	v_mul_f64 v[47:48], v[189:190], s[38:39]
	v_add_f64 v[32:33], v[36:37], v[32:33]
	v_fma_f64 v[156:157], v[170:171], s[22:23], v[47:48]
	v_fma_f64 v[36:37], v[170:171], s[22:23], -v[47:48]
	v_mul_f64 v[47:48], v[187:188], s[20:21]
	v_add_f64 v[30:31], v[156:157], v[30:31]
	v_fma_f64 v[156:157], v[164:165], s[12:13], v[162:163]
	v_add_f64 v[28:29], v[36:37], v[28:29]
	v_fma_f64 v[36:37], v[164:165], s[38:39], v[162:163]
	;; [unrolled: 2-line block ×3, first 2 shown]
	v_add_f64 v[32:33], v[36:37], v[32:33]
	v_fma_f64 v[36:37], v[174:175], s[8:9], -v[229:230]
	v_mul_f64 v[229:230], v[8:9], s[18:19]
	v_add_f64 v[30:31], v[156:157], v[30:31]
	v_fma_f64 v[156:157], v[168:169], s[14:15], v[231:232]
	v_add_f64 v[28:29], v[36:37], v[28:29]
	v_fma_f64 v[36:37], v[168:169], s[34:35], v[231:232]
	v_mul_f64 v[231:232], v[185:186], s[12:13]
	v_add_f64 v[41:42], v[156:157], v[41:42]
	v_fma_f64 v[156:157], v[181:182], s[20:21], v[233:234]
	v_add_f64 v[32:33], v[36:37], v[32:33]
	v_fma_f64 v[36:37], v[181:182], s[20:21], -v[233:234]
	v_fma_f64 v[233:234], v[181:182], s[22:23], v[231:232]
	v_add_f64 v[156:157], v[156:157], v[30:31]
	v_mul_f64 v[30:31], v[183:184], s[20:21]
	v_add_f64 v[160:161], v[36:37], v[28:29]
	v_mul_f64 v[36:37], v[203:204], s[30:31]
	v_fma_f64 v[158:159], v[172:173], s[26:27], v[30:31]
	v_fma_f64 v[30:31], v[172:173], s[36:37], v[30:31]
	;; [unrolled: 1-line block ×3, first 2 shown]
	v_fma_f64 v[36:37], v[166:167], s[28:29], -v[36:37]
	v_add_f64 v[158:159], v[158:159], v[41:42]
	v_mul_f64 v[41:42], v[18:19], s[40:41]
	v_add_f64 v[28:29], v[28:29], v[39:40]
	v_mul_f64 v[39:40], v[201:202], s[28:29]
	v_add_f64 v[162:163], v[30:31], v[32:33]
	v_add_f64 v[36:37], v[36:37], v[215:216]
	v_fma_f64 v[32:33], v[0:1], s[16:17], v[41:42]
	v_fma_f64 v[41:42], v[0:1], s[16:17], -v[41:42]
	v_fma_f64 v[30:31], v[176:177], s[44:45], v[39:40]
	v_fma_f64 v[39:40], v[176:177], s[30:31], v[39:40]
	v_add_f64 v[28:29], v[32:33], v[28:29]
	v_fma_f64 v[32:33], v[2:3], s[6:7], v[43:44]
	v_add_f64 v[30:31], v[30:31], v[213:214]
	v_add_f64 v[39:40], v[39:40], v[217:218]
	;; [unrolled: 1-line block ×3, first 2 shown]
	v_fma_f64 v[41:42], v[2:3], s[40:41], v[43:44]
	v_mul_f64 v[213:214], v[10:11], s[24:25]
	v_add_f64 v[30:31], v[32:33], v[30:31]
	v_fma_f64 v[32:33], v[170:171], s[20:21], v[45:46]
	v_add_f64 v[39:40], v[41:42], v[39:40]
	v_fma_f64 v[41:42], v[170:171], s[20:21], -v[45:46]
	v_add_f64 v[28:29], v[32:33], v[28:29]
	v_fma_f64 v[32:33], v[164:165], s[26:27], v[47:48]
	v_add_f64 v[36:37], v[41:42], v[36:37]
	v_fma_f64 v[41:42], v[164:165], s[36:37], v[47:48]
	v_mul_f64 v[47:48], v[201:202], s[22:23]
	v_add_f64 v[30:31], v[32:33], v[30:31]
	v_fma_f64 v[32:33], v[174:175], s[18:19], v[213:214]
	v_add_f64 v[39:40], v[41:42], v[39:40]
	v_fma_f64 v[41:42], v[174:175], s[18:19], -v[213:214]
	v_mul_f64 v[213:214], v[18:19], s[36:37]
	v_fma_f64 v[45:46], v[176:177], s[12:13], v[47:48]
	v_fma_f64 v[47:48], v[176:177], s[38:39], v[47:48]
	v_add_f64 v[28:29], v[32:33], v[28:29]
	v_fma_f64 v[32:33], v[168:169], s[42:43], v[229:230]
	v_add_f64 v[36:37], v[41:42], v[36:37]
	v_fma_f64 v[41:42], v[168:169], s[24:25], v[229:230]
	v_fma_f64 v[215:216], v[0:1], s[20:21], v[213:214]
	v_add_f64 v[45:46], v[45:46], v[221:222]
	v_add_f64 v[47:48], v[47:48], v[49:50]
	v_fma_f64 v[49:50], v[0:1], s[20:21], -v[213:214]
	v_add_f64 v[31:32], v[32:33], v[30:31]
	v_add_f64 v[29:30], v[233:234], v[28:29]
	v_mul_f64 v[233:234], v[183:184], s[22:23]
	v_add_f64 v[41:42], v[41:42], v[39:40]
	v_fma_f64 v[39:40], v[181:182], s[22:23], -v[231:232]
	v_fma_f64 v[43:44], v[172:173], s[12:13], v[233:234]
	v_fma_f64 v[235:236], v[172:173], s[38:39], v[233:234]
	v_add_f64 v[39:40], v[39:40], v[36:37]
	v_mul_f64 v[36:37], v[203:204], s[38:39]
	v_add_f64 v[41:42], v[43:44], v[41:42]
	v_add_f64 v[31:32], v[235:236], v[31:32]
	v_fma_f64 v[43:44], v[166:167], s[22:23], v[36:37]
	v_fma_f64 v[36:37], v[166:167], s[22:23], -v[36:37]
	v_add_f64 v[43:44], v[43:44], v[219:220]
	v_add_f64 v[36:37], v[36:37], v[223:224]
	v_mul_f64 v[223:224], v[16:17], s[18:19]
	v_add_f64 v[43:44], v[215:216], v[43:44]
	v_mul_f64 v[215:216], v[16:17], s[20:21]
	;; [unrolled: 2-line block ×3, first 2 shown]
	v_fma_f64 v[217:218], v[2:3], s[26:27], v[215:216]
	v_fma_f64 v[49:50], v[2:3], s[36:37], v[215:216]
	v_add_f64 v[45:46], v[217:218], v[45:46]
	v_mul_f64 v[217:218], v[189:190], s[14:15]
	v_add_f64 v[47:48], v[49:50], v[47:48]
	v_fma_f64 v[219:220], v[170:171], s[8:9], v[217:218]
	v_fma_f64 v[49:50], v[170:171], s[8:9], -v[217:218]
	v_add_f64 v[43:44], v[219:220], v[43:44]
	v_mul_f64 v[219:220], v[187:188], s[8:9]
	v_add_f64 v[36:37], v[49:50], v[36:37]
	v_fma_f64 v[221:222], v[164:165], s[34:35], v[219:220]
	v_fma_f64 v[49:50], v[164:165], s[14:15], v[219:220]
	v_add_f64 v[45:46], v[221:222], v[45:46]
	v_mul_f64 v[221:222], v[10:11], s[44:45]
	v_add_f64 v[47:48], v[49:50], v[47:48]
	v_fma_f64 v[229:230], v[174:175], s[28:29], v[221:222]
	v_fma_f64 v[49:50], v[174:175], s[28:29], -v[221:222]
	v_mul_f64 v[221:222], v[18:19], s[24:25]
	v_mul_f64 v[18:19], v[18:19], s[12:13]
	v_add_f64 v[43:44], v[229:230], v[43:44]
	v_mul_f64 v[229:230], v[8:9], s[28:29]
	v_add_f64 v[36:37], v[49:50], v[36:37]
	v_fma_f64 v[219:220], v[0:1], s[18:19], v[221:222]
	v_fma_f64 v[231:232], v[168:169], s[30:31], v[229:230]
	;; [unrolled: 1-line block ×3, first 2 shown]
	v_mul_f64 v[229:230], v[10:11], s[36:37]
	v_add_f64 v[45:46], v[231:232], v[45:46]
	v_mul_f64 v[231:232], v[185:186], s[42:43]
	v_add_f64 v[47:48], v[49:50], v[47:48]
	v_fma_f64 v[233:234], v[181:182], s[18:19], v[231:232]
	v_fma_f64 v[49:50], v[181:182], s[18:19], -v[231:232]
	v_mul_f64 v[231:232], v[8:9], s[20:21]
	v_add_f64 v[43:44], v[233:234], v[43:44]
	v_mul_f64 v[233:234], v[183:184], s[18:19]
	v_add_f64 v[213:214], v[49:50], v[36:37]
	v_mul_f64 v[36:37], v[203:204], s[34:35]
	v_mul_f64 v[49:50], v[201:202], s[8:9]
	v_fma_f64 v[215:216], v[172:173], s[42:43], v[233:234]
	v_fma_f64 v[235:236], v[172:173], s[24:25], v[233:234]
	v_mul_f64 v[233:234], v[185:186], s[6:7]
	v_fma_f64 v[217:218], v[176:177], s[14:15], v[49:50]
	v_fma_f64 v[49:50], v[176:177], s[34:35], v[49:50]
	v_mul_f64 v[185:186], v[185:186], s[34:35]
	v_add_f64 v[215:216], v[215:216], v[47:48]
	v_fma_f64 v[47:48], v[166:167], s[8:9], v[36:37]
	v_fma_f64 v[36:37], v[166:167], s[8:9], -v[36:37]
	v_add_f64 v[217:218], v[217:218], v[227:228]
	v_add_f64 v[49:50], v[49:50], v[209:210]
	v_fma_f64 v[209:210], v[0:1], s[18:19], -v[221:222]
	v_mul_f64 v[227:228], v[187:188], s[28:29]
	v_add_f64 v[45:46], v[235:236], v[45:46]
	v_mul_f64 v[187:188], v[187:188], s[18:19]
	v_add_f64 v[47:48], v[47:48], v[225:226]
	;; [unrolled: 2-line block ×3, first 2 shown]
	v_add_f64 v[47:48], v[219:220], v[47:48]
	v_fma_f64 v[219:220], v[2:3], s[42:43], v[223:224]
	v_add_f64 v[36:37], v[209:210], v[36:37]
	v_fma_f64 v[209:210], v[2:3], s[24:25], v[223:224]
	v_add_f64 v[217:218], v[219:220], v[217:218]
	v_fma_f64 v[219:220], v[170:171], s[28:29], v[225:226]
	v_add_f64 v[49:50], v[209:210], v[49:50]
	v_fma_f64 v[209:210], v[170:171], s[28:29], -v[225:226]
	v_add_f64 v[47:48], v[219:220], v[47:48]
	v_fma_f64 v[219:220], v[164:165], s[30:31], v[227:228]
	v_add_f64 v[36:37], v[209:210], v[36:37]
	v_fma_f64 v[209:210], v[164:165], s[44:45], v[227:228]
	v_add_f64 v[217:218], v[219:220], v[217:218]
	v_fma_f64 v[219:220], v[174:175], s[20:21], v[229:230]
	v_add_f64 v[49:50], v[209:210], v[49:50]
	v_fma_f64 v[209:210], v[174:175], s[20:21], -v[229:230]
	;; [unrolled: 8-line block ×3, first 2 shown]
	v_add_f64 v[217:218], v[217:218], v[47:48]
	v_mul_f64 v[47:48], v[183:184], s[16:17]
	v_add_f64 v[209:210], v[209:210], v[36:37]
	v_mul_f64 v[36:37], v[203:204], s[36:37]
	v_mul_f64 v[183:184], v[183:184], s[8:9]
	v_fma_f64 v[235:236], v[172:173], s[40:41], v[47:48]
	v_fma_f64 v[47:48], v[172:173], s[6:7], v[47:48]
	v_add_f64 v[219:220], v[235:236], v[219:220]
	v_add_f64 v[211:212], v[47:48], v[49:50]
	v_fma_f64 v[47:48], v[166:167], s[20:21], v[36:37]
	v_add_f64 v[22:23], v[47:48], v[22:23]
	v_mul_f64 v[47:48], v[201:202], s[20:21]
	v_fma_f64 v[49:50], v[176:177], s[26:27], v[47:48]
	v_add_f64 v[20:21], v[49:50], v[20:21]
	v_fma_f64 v[49:50], v[0:1], s[22:23], v[18:19]
	v_fma_f64 v[18:19], v[0:1], s[22:23], -v[18:19]
	v_fma_f64 v[0:1], v[0:1], s[8:9], -v[14:15]
	v_fma_f64 v[14:15], v[164:165], s[6:7], v[195:196]
	v_add_f64 v[22:23], v[49:50], v[22:23]
	v_fma_f64 v[49:50], v[2:3], s[38:39], v[16:17]
	v_fma_f64 v[16:17], v[2:3], s[12:13], v[16:17]
	;; [unrolled: 1-line block ×3, first 2 shown]
	v_add_f64 v[20:21], v[49:50], v[20:21]
	v_mul_f64 v[49:50], v[189:190], s[42:43]
	v_add_f64 v[2:3], v[2:3], v[6:7]
	v_fma_f64 v[6:7], v[168:169], s[12:13], v[199:200]
	v_fma_f64 v[189:190], v[170:171], s[18:19], v[49:50]
	v_add_f64 v[2:3], v[14:15], v[2:3]
	v_fma_f64 v[14:15], v[172:173], s[30:31], v[26:27]
	v_add_f64 v[22:23], v[189:190], v[22:23]
	;; [unrolled: 2-line block ×3, first 2 shown]
	v_add_f64 v[20:21], v[189:190], v[20:21]
	v_mul_f64 v[189:190], v[10:11], s[6:7]
	v_add_f64 v[2:3], v[14:15], v[2:3]
	v_fma_f64 v[10:11], v[174:175], s[16:17], v[189:190]
	v_add_f64 v[10:11], v[10:11], v[22:23]
	v_mul_f64 v[22:23], v[8:9], s[16:17]
	v_fma_f64 v[8:9], v[168:169], s[40:41], v[22:23]
	v_add_f64 v[20:21], v[8:9], v[20:21]
	v_fma_f64 v[8:9], v[181:182], s[8:9], v[185:186]
	v_add_f64 v[8:9], v[8:9], v[10:11]
	;; [unrolled: 2-line block ×3, first 2 shown]
	v_fma_f64 v[20:21], v[166:167], s[20:21], -v[36:37]
	v_fma_f64 v[36:37], v[176:177], s[36:37], v[47:48]
	v_add_f64 v[20:21], v[20:21], v[207:208]
	v_add_f64 v[36:37], v[36:37], v[205:206]
	;; [unrolled: 1-line block ×3, first 2 shown]
	v_fma_f64 v[20:21], v[170:171], s[18:19], -v[49:50]
	v_add_f64 v[16:17], v[16:17], v[36:37]
	v_add_f64 v[18:19], v[20:21], v[18:19]
	v_fma_f64 v[20:21], v[164:165], s[42:43], v[187:188]
	v_add_f64 v[16:17], v[20:21], v[16:17]
	v_fma_f64 v[20:21], v[174:175], s[16:17], -v[189:190]
	v_add_f64 v[18:19], v[20:21], v[18:19]
	v_fma_f64 v[20:21], v[168:169], s[6:7], v[22:23]
	v_fma_f64 v[22:23], v[172:173], s[34:35], v[183:184]
	v_add_f64 v[20:21], v[20:21], v[16:17]
	v_fma_f64 v[16:17], v[181:182], s[8:9], -v[185:186]
	v_add_f64 v[16:17], v[16:17], v[18:19]
	v_add_f64 v[18:19], v[22:23], v[20:21]
	v_fma_f64 v[20:21], v[166:167], s[18:19], -v[178:179]
	v_add_f64 v[4:5], v[20:21], v[4:5]
	;; [unrolled: 3-line block ×3, first 2 shown]
	v_fma_f64 v[12:13], v[181:182], s[28:29], -v[24:25]
	v_add_f64 v[0:1], v[4:5], v[0:1]
	v_add_f64 v[0:1], v[12:13], v[0:1]
	ds_write_b128 v51, v[148:151] offset:16
	ds_write_b128 v51, v[156:159] offset:32
	;; [unrolled: 1-line block ×12, first 2 shown]
	ds_write_b128 v51, v[152:155]
	s_waitcnt lgkmcnt(0)
	s_barrier
	buffer_gl0_inv
	ds_read_b128 v[0:3], v35 offset:2704
	ds_read_b128 v[24:27], v35
	s_waitcnt lgkmcnt(1)
	v_mul_f64 v[4:5], v[58:59], v[2:3]
	v_fma_f64 v[8:9], v[56:57], v[0:1], v[4:5]
	v_mul_f64 v[0:1], v[58:59], v[0:1]
	v_fma_f64 v[10:11], v[56:57], v[2:3], -v[0:1]
	ds_read_b128 v[0:3], v35 offset:5408
	ds_read_b128 v[4:7], v35 offset:8112
	s_waitcnt lgkmcnt(1)
	v_mul_f64 v[12:13], v[54:55], v[2:3]
	v_add_f64 v[158:159], v[26:27], v[10:11]
	v_fma_f64 v[148:149], v[52:53], v[0:1], v[12:13]
	v_mul_f64 v[0:1], v[54:55], v[0:1]
	v_fma_f64 v[150:151], v[52:53], v[2:3], -v[0:1]
	s_waitcnt lgkmcnt(0)
	v_mul_f64 v[0:1], v[74:75], v[6:7]
	v_fma_f64 v[152:153], v[72:73], v[4:5], v[0:1]
	v_mul_f64 v[0:1], v[74:75], v[4:5]
	v_fma_f64 v[72:73], v[72:73], v[6:7], -v[0:1]
	ds_read_b128 v[0:3], v35 offset:10816
	ds_read_b128 v[4:7], v35 offset:13520
	s_waitcnt lgkmcnt(1)
	v_mul_f64 v[12:13], v[62:63], v[2:3]
	v_fma_f64 v[74:75], v[60:61], v[0:1], v[12:13]
	v_mul_f64 v[0:1], v[62:63], v[0:1]
	v_fma_f64 v[154:155], v[60:61], v[2:3], -v[0:1]
	s_waitcnt lgkmcnt(0)
	v_mul_f64 v[0:1], v[82:83], v[6:7]
	v_fma_f64 v[156:157], v[80:81], v[4:5], v[0:1]
	v_mul_f64 v[0:1], v[82:83], v[4:5]
	v_fma_f64 v[80:81], v[80:81], v[6:7], -v[0:1]
	ds_read_b128 v[0:3], v35 offset:16224
	ds_read_b128 v[4:7], v35 offset:18928
	s_waitcnt lgkmcnt(1)
	v_mul_f64 v[12:13], v[66:67], v[2:3]
	v_fma_f64 v[82:83], v[64:65], v[0:1], v[12:13]
	v_mul_f64 v[0:1], v[66:67], v[0:1]
	v_fma_f64 v[64:65], v[64:65], v[2:3], -v[0:1]
	s_waitcnt lgkmcnt(0)
	v_mul_f64 v[0:1], v[86:87], v[6:7]
	v_fma_f64 v[66:67], v[84:85], v[4:5], v[0:1]
	v_mul_f64 v[0:1], v[86:87], v[4:5]
	v_add_f64 v[209:210], v[82:83], v[66:67]
	v_fma_f64 v[84:85], v[84:85], v[6:7], -v[0:1]
	ds_read_b128 v[0:3], v35 offset:21632
	ds_read_b128 v[4:7], v35 offset:24336
	s_waitcnt lgkmcnt(1)
	v_mul_f64 v[12:13], v[70:71], v[2:3]
	v_add_f64 v[213:214], v[64:65], -v[84:85]
	v_add_f64 v[211:212], v[64:65], v[84:85]
	v_fma_f64 v[86:87], v[68:69], v[0:1], v[12:13]
	v_mul_f64 v[0:1], v[70:71], v[0:1]
	v_fma_f64 v[68:69], v[68:69], v[2:3], -v[0:1]
	s_waitcnt lgkmcnt(0)
	v_mul_f64 v[0:1], v[94:95], v[6:7]
	v_fma_f64 v[70:71], v[92:93], v[4:5], v[0:1]
	v_mul_f64 v[0:1], v[94:95], v[4:5]
	v_add_f64 v[193:194], v[74:75], v[70:71]
	v_fma_f64 v[92:93], v[92:93], v[6:7], -v[0:1]
	ds_read_b128 v[0:3], v35 offset:27040
	ds_read_b128 v[4:7], v35 offset:29744
	v_add_f64 v[195:196], v[74:75], -v[70:71]
	s_waitcnt lgkmcnt(1)
	v_mul_f64 v[12:13], v[78:79], v[2:3]
	v_add_f64 v[205:206], v[154:155], -v[92:93]
	v_add_f64 v[207:208], v[154:155], v[92:93]
	v_fma_f64 v[94:95], v[76:77], v[0:1], v[12:13]
	v_mul_f64 v[0:1], v[78:79], v[0:1]
	v_add_f64 v[176:177], v[152:153], v[94:95]
	v_fma_f64 v[76:77], v[76:77], v[2:3], -v[0:1]
	s_waitcnt lgkmcnt(0)
	v_mul_f64 v[0:1], v[98:99], v[6:7]
	v_add_f64 v[178:179], v[152:153], -v[94:95]
	v_add_f64 v[197:198], v[72:73], -v[76:77]
	v_fma_f64 v[78:79], v[96:97], v[4:5], v[0:1]
	v_mul_f64 v[0:1], v[98:99], v[4:5]
	v_add_f64 v[199:200], v[72:73], v[76:77]
	v_add_f64 v[166:167], v[148:149], -v[78:79]
	v_fma_f64 v[96:97], v[96:97], v[6:7], -v[0:1]
	ds_read_b128 v[0:3], v35 offset:32448
	s_waitcnt lgkmcnt(0)
	s_barrier
	buffer_gl0_inv
	v_mul_f64 v[4:5], v[90:91], v[0:1]
	v_add_f64 v[181:182], v[150:151], -v[96:97]
	v_add_f64 v[183:184], v[150:151], v[96:97]
	v_fma_f64 v[98:99], v[88:89], v[2:3], -v[4:5]
	v_mul_f64 v[2:3], v[90:91], v[2:3]
	v_add_f64 v[90:91], v[24:25], v[8:9]
	v_fma_f64 v[88:89], v[88:89], v[0:1], v[2:3]
	v_add_f64 v[0:1], v[10:11], -v[98:99]
	v_add_f64 v[16:17], v[8:9], v[88:89]
	v_mul_f64 v[2:3], v[0:1], s[26:27]
	v_mul_f64 v[4:5], v[0:1], s[24:25]
	;; [unrolled: 1-line block ×6, first 2 shown]
	v_add_f64 v[47:48], v[8:9], -v[88:89]
	v_fma_f64 v[18:19], v[16:17], s[20:21], v[2:3]
	v_fma_f64 v[2:3], v[16:17], s[20:21], -v[2:3]
	v_fma_f64 v[20:21], v[16:17], s[18:19], v[4:5]
	v_fma_f64 v[4:5], v[16:17], s[18:19], -v[4:5]
	v_fma_f64 v[28:29], v[16:17], s[8:9], v[6:7]
	v_fma_f64 v[41:42], v[16:17], s[28:29], v[0:1]
	v_fma_f64 v[43:44], v[16:17], s[28:29], -v[0:1]
	v_add_f64 v[0:1], v[10:11], v[98:99]
	v_fma_f64 v[30:31], v[16:17], s[8:9], -v[6:7]
	v_fma_f64 v[32:33], v[16:17], s[16:17], v[12:13]
	v_fma_f64 v[36:37], v[16:17], s[16:17], -v[12:13]
	v_fma_f64 v[39:40], v[16:17], s[22:23], v[14:15]
	v_fma_f64 v[14:15], v[16:17], s[22:23], -v[14:15]
	v_add_f64 v[8:9], v[24:25], v[18:19]
	v_add_f64 v[56:57], v[24:25], v[2:3]
	;; [unrolled: 1-line block ×4, first 2 shown]
	v_mul_f64 v[6:7], v[0:1], s[20:21]
	v_mul_f64 v[12:13], v[0:1], s[18:19]
	;; [unrolled: 1-line block ×6, first 2 shown]
	v_add_f64 v[2:3], v[24:25], v[30:31]
	v_add_f64 v[174:175], v[24:25], v[14:15]
	v_mul_f64 v[30:31], v[197:198], s[14:15]
	v_add_f64 v[203:204], v[24:25], v[32:33]
	v_mul_f64 v[32:33], v[199:200], s[8:9]
	;; [unrolled: 2-line block ×4, first 2 shown]
	v_fma_f64 v[49:50], v[47:48], s[36:37], v[6:7]
	v_fma_f64 v[6:7], v[47:48], s[26:27], v[6:7]
	;; [unrolled: 1-line block ×6, first 2 shown]
	v_add_f64 v[12:13], v[24:25], v[4:5]
	v_fma_f64 v[62:63], v[47:48], s[40:41], v[22:23]
	v_fma_f64 v[160:161], v[47:48], s[6:7], v[22:23]
	v_fma_f64 v[20:21], v[176:177], s[8:9], v[30:31]
	v_fma_f64 v[60:61], v[47:48], s[14:15], v[16:17]
	v_fma_f64 v[162:163], v[47:48], s[38:39], v[45:46]
	v_fma_f64 v[45:46], v[47:48], s[12:13], v[45:46]
	v_fma_f64 v[47:48], v[47:48], s[30:31], v[0:1]
	v_add_f64 v[49:50], v[26:27], v[49:50]
	v_add_f64 v[22:23], v[26:27], v[6:7]
	;; [unrolled: 1-line block ×3, first 2 shown]
	v_mul_f64 v[58:59], v[181:182], s[24:25]
	v_add_f64 v[6:7], v[24:25], v[28:29]
	v_add_f64 v[168:169], v[26:27], v[164:165]
	;; [unrolled: 1-line block ×3, first 2 shown]
	v_mul_f64 v[28:29], v[183:184], s[18:19]
	v_add_f64 v[189:190], v[26:27], v[160:161]
	v_add_f64 v[160:161], v[24:25], v[43:44]
	v_add_f64 v[24:25], v[80:81], -v[68:69]
	v_add_f64 v[16:17], v[26:27], v[51:52]
	v_add_f64 v[10:11], v[26:27], v[53:54]
	;; [unrolled: 1-line block ×8, first 2 shown]
	v_fma_f64 v[14:15], v[164:165], s[18:19], v[58:59]
	v_mul_f64 v[43:44], v[24:25], s[12:13]
	v_mul_f64 v[45:46], v[26:27], s[22:23]
	v_add_f64 v[8:9], v[14:15], v[8:9]
	v_fma_f64 v[14:15], v[166:167], s[42:43], v[28:29]
	v_fma_f64 v[28:29], v[166:167], s[24:25], v[28:29]
	v_add_f64 v[8:9], v[20:21], v[8:9]
	v_add_f64 v[14:15], v[14:15], v[49:50]
	v_fma_f64 v[20:21], v[178:179], s[34:35], v[32:33]
	v_add_f64 v[22:23], v[28:29], v[22:23]
	v_fma_f64 v[28:29], v[176:177], s[8:9], -v[30:31]
	v_fma_f64 v[30:31], v[178:179], s[14:15], v[32:33]
	v_add_f64 v[14:15], v[20:21], v[14:15]
	v_fma_f64 v[20:21], v[193:194], s[16:17], v[36:37]
	v_add_f64 v[22:23], v[30:31], v[22:23]
	v_fma_f64 v[30:31], v[193:194], s[16:17], -v[36:37]
	v_add_f64 v[20:21], v[20:21], v[8:9]
	v_fma_f64 v[8:9], v[195:196], s[40:41], v[39:40]
	v_add_f64 v[41:42], v[8:9], v[14:15]
	v_add_f64 v[8:9], v[156:157], v[86:87]
	v_fma_f64 v[14:15], v[8:9], s[22:23], v[43:44]
	v_add_f64 v[20:21], v[14:15], v[20:21]
	v_add_f64 v[14:15], v[156:157], -v[86:87]
	v_fma_f64 v[47:48], v[14:15], s[38:39], v[45:46]
	v_add_f64 v[41:42], v[47:48], v[41:42]
	v_mul_f64 v[47:48], v[213:214], s[30:31]
	v_fma_f64 v[49:50], v[209:210], s[28:29], v[47:48]
	v_add_f64 v[52:53], v[49:50], v[20:21]
	v_add_f64 v[20:21], v[82:83], -v[66:67]
	v_mul_f64 v[49:50], v[211:212], s[28:29]
	v_fma_f64 v[54:55], v[20:21], s[44:45], v[49:50]
	v_fma_f64 v[32:33], v[20:21], s[30:31], v[49:50]
	v_add_f64 v[54:55], v[54:55], v[41:42]
	v_fma_f64 v[41:42], v[164:165], s[18:19], -v[58:59]
	v_add_f64 v[41:42], v[41:42], v[56:57]
	v_add_f64 v[28:29], v[28:29], v[41:42]
	;; [unrolled: 1-line block ×3, first 2 shown]
	v_fma_f64 v[30:31], v[195:196], s[6:7], v[39:40]
	v_add_f64 v[22:23], v[30:31], v[22:23]
	v_fma_f64 v[30:31], v[8:9], s[22:23], -v[43:44]
	v_add_f64 v[28:29], v[30:31], v[28:29]
	v_fma_f64 v[30:31], v[14:15], s[12:13], v[45:46]
	v_add_f64 v[22:23], v[30:31], v[22:23]
	v_fma_f64 v[30:31], v[209:210], s[28:29], -v[47:48]
	v_add_f64 v[58:59], v[32:33], v[22:23]
	v_mul_f64 v[22:23], v[181:182], s[6:7]
	v_add_f64 v[56:57], v[30:31], v[28:29]
	v_fma_f64 v[28:29], v[164:165], s[16:17], v[22:23]
	v_add_f64 v[18:19], v[28:29], v[18:19]
	v_mul_f64 v[28:29], v[183:184], s[16:17]
	v_fma_f64 v[30:31], v[166:167], s[40:41], v[28:29]
	v_add_f64 v[16:17], v[30:31], v[16:17]
	v_mul_f64 v[30:31], v[197:198], s[30:31]
	;; [unrolled: 3-line block ×9, first 2 shown]
	v_fma_f64 v[47:48], v[20:21], s[26:27], v[18:19]
	v_fma_f64 v[18:19], v[20:21], s[36:37], v[18:19]
	v_add_f64 v[62:63], v[47:48], v[16:17]
	v_fma_f64 v[16:17], v[164:165], s[16:17], -v[22:23]
	v_add_f64 v[12:13], v[16:17], v[12:13]
	v_fma_f64 v[16:17], v[166:167], s[6:7], v[28:29]
	v_add_f64 v[10:11], v[16:17], v[10:11]
	v_fma_f64 v[16:17], v[176:177], s[28:29], -v[30:31]
	v_add_f64 v[12:13], v[16:17], v[12:13]
	;; [unrolled: 4-line block ×4, first 2 shown]
	v_fma_f64 v[16:17], v[14:15], s[34:35], v[43:44]
	v_mul_f64 v[43:44], v[213:214], s[12:13]
	v_add_f64 v[16:17], v[16:17], v[10:11]
	v_fma_f64 v[10:11], v[209:210], s[20:21], -v[45:46]
	v_mul_f64 v[45:46], v[211:212], s[22:23]
	v_add_f64 v[10:11], v[10:11], v[12:13]
	v_add_f64 v[12:13], v[18:19], v[16:17]
	v_mul_f64 v[16:17], v[181:182], s[30:31]
	v_fma_f64 v[18:19], v[164:165], s[28:29], v[16:17]
	v_fma_f64 v[16:17], v[164:165], s[28:29], -v[16:17]
	v_add_f64 v[6:7], v[18:19], v[6:7]
	v_mul_f64 v[18:19], v[183:184], s[28:29]
	v_add_f64 v[2:3], v[16:17], v[2:3]
	v_fma_f64 v[22:23], v[166:167], s[44:45], v[18:19]
	v_fma_f64 v[16:17], v[166:167], s[30:31], v[18:19]
	;; [unrolled: 1-line block ×3, first 2 shown]
	v_add_f64 v[4:5], v[22:23], v[4:5]
	v_mul_f64 v[22:23], v[197:198], s[40:41]
	v_add_f64 v[0:1], v[16:17], v[0:1]
	v_fma_f64 v[28:29], v[176:177], s[16:17], v[22:23]
	v_fma_f64 v[16:17], v[176:177], s[16:17], -v[22:23]
	v_mul_f64 v[22:23], v[181:182], s[38:39]
	v_add_f64 v[6:7], v[28:29], v[6:7]
	v_mul_f64 v[28:29], v[199:200], s[16:17]
	v_add_f64 v[2:3], v[16:17], v[2:3]
	v_fma_f64 v[30:31], v[178:179], s[6:7], v[28:29]
	v_fma_f64 v[16:17], v[178:179], s[40:41], v[28:29]
	v_mul_f64 v[28:29], v[183:184], s[22:23]
	v_add_f64 v[4:5], v[30:31], v[4:5]
	v_mul_f64 v[30:31], v[205:206], s[36:37]
	v_add_f64 v[0:1], v[16:17], v[0:1]
	v_fma_f64 v[32:33], v[193:194], s[20:21], v[30:31]
	v_fma_f64 v[16:17], v[193:194], s[20:21], -v[30:31]
	v_mul_f64 v[30:31], v[197:198], s[36:37]
	v_add_f64 v[6:7], v[32:33], v[6:7]
	v_mul_f64 v[32:33], v[207:208], s[20:21]
	v_add_f64 v[2:3], v[16:17], v[2:3]
	v_fma_f64 v[36:37], v[195:196], s[26:27], v[32:33]
	v_fma_f64 v[16:17], v[195:196], s[36:37], v[32:33]
	;; [unrolled: 1-line block ×3, first 2 shown]
	v_fma_f64 v[30:31], v[176:177], s[20:21], -v[30:31]
	v_add_f64 v[4:5], v[36:37], v[4:5]
	v_mul_f64 v[36:37], v[24:25], s[24:25]
	v_add_f64 v[0:1], v[16:17], v[0:1]
	v_fma_f64 v[39:40], v[8:9], s[18:19], v[36:37]
	v_fma_f64 v[16:17], v[8:9], s[18:19], -v[36:37]
	v_add_f64 v[6:7], v[39:40], v[6:7]
	v_mul_f64 v[39:40], v[26:27], s[18:19]
	v_add_f64 v[2:3], v[16:17], v[2:3]
	v_fma_f64 v[16:17], v[14:15], s[24:25], v[39:40]
	v_fma_f64 v[41:42], v[14:15], s[42:43], v[39:40]
	v_add_f64 v[16:17], v[16:17], v[0:1]
	v_fma_f64 v[0:1], v[209:210], s[22:23], -v[43:44]
	v_add_f64 v[41:42], v[41:42], v[4:5]
	v_fma_f64 v[4:5], v[209:210], s[22:23], v[43:44]
	v_add_f64 v[0:1], v[0:1], v[2:3]
	v_add_f64 v[2:3], v[18:19], v[16:17]
	v_fma_f64 v[16:17], v[164:165], s[22:23], v[22:23]
	v_fma_f64 v[18:19], v[166:167], s[12:13], v[28:29]
	v_add_f64 v[4:5], v[4:5], v[6:7]
	v_fma_f64 v[6:7], v[20:21], s[38:39], v[45:46]
	v_fma_f64 v[22:23], v[164:165], s[22:23], -v[22:23]
	v_fma_f64 v[28:29], v[166:167], s[38:39], v[28:29]
	v_add_f64 v[16:17], v[16:17], v[203:204]
	v_add_f64 v[18:19], v[18:19], v[201:202]
	;; [unrolled: 1-line block ×5, first 2 shown]
	v_mul_f64 v[189:190], v[213:214], s[6:7]
	v_add_f64 v[16:17], v[32:33], v[16:17]
	v_mul_f64 v[32:33], v[199:200], s[20:21]
	v_add_f64 v[22:23], v[30:31], v[22:23]
	v_fma_f64 v[36:37], v[178:179], s[26:27], v[32:33]
	v_fma_f64 v[30:31], v[178:179], s[36:37], v[32:33]
	v_add_f64 v[18:19], v[36:37], v[18:19]
	v_mul_f64 v[36:37], v[205:206], s[14:15]
	v_add_f64 v[28:29], v[30:31], v[28:29]
	v_fma_f64 v[39:40], v[193:194], s[8:9], v[36:37]
	v_fma_f64 v[30:31], v[193:194], s[8:9], -v[36:37]
	v_mul_f64 v[36:37], v[183:184], s[8:9]
	v_add_f64 v[16:17], v[39:40], v[16:17]
	v_mul_f64 v[39:40], v[207:208], s[8:9]
	v_add_f64 v[22:23], v[30:31], v[22:23]
	v_fma_f64 v[41:42], v[195:196], s[34:35], v[39:40]
	v_fma_f64 v[30:31], v[195:196], s[14:15], v[39:40]
	;; [unrolled: 1-line block ×4, first 2 shown]
	v_add_f64 v[18:19], v[41:42], v[18:19]
	v_mul_f64 v[41:42], v[24:25], s[44:45]
	v_add_f64 v[28:29], v[30:31], v[28:29]
	v_add_f64 v[39:40], v[39:40], v[185:186]
	v_mul_f64 v[185:186], v[24:25], s[36:37]
	v_add_f64 v[36:37], v[36:37], v[172:173]
	v_fma_f64 v[43:44], v[8:9], s[28:29], v[41:42]
	v_fma_f64 v[30:31], v[8:9], s[28:29], -v[41:42]
	v_add_f64 v[16:17], v[43:44], v[16:17]
	v_mul_f64 v[43:44], v[26:27], s[28:29]
	v_add_f64 v[22:23], v[30:31], v[22:23]
	v_fma_f64 v[45:46], v[14:15], s[30:31], v[43:44]
	v_fma_f64 v[30:31], v[14:15], s[44:45], v[43:44]
	v_mul_f64 v[43:44], v[197:198], s[24:25]
	v_add_f64 v[18:19], v[45:46], v[18:19]
	v_mul_f64 v[45:46], v[213:214], s[42:43]
	v_add_f64 v[30:31], v[30:31], v[28:29]
	v_fma_f64 v[41:42], v[176:177], s[18:19], v[43:44]
	v_fma_f64 v[43:44], v[176:177], s[18:19], -v[43:44]
	v_fma_f64 v[47:48], v[209:210], s[18:19], v[45:46]
	v_fma_f64 v[28:29], v[209:210], s[18:19], -v[45:46]
	v_mul_f64 v[45:46], v[199:200], s[18:19]
	v_add_f64 v[16:17], v[47:48], v[16:17]
	v_mul_f64 v[47:48], v[211:212], s[18:19]
	v_add_f64 v[28:29], v[28:29], v[22:23]
	v_mul_f64 v[22:23], v[181:182], s[34:35]
	v_fma_f64 v[32:33], v[20:21], s[42:43], v[47:48]
	v_fma_f64 v[49:50], v[20:21], s[24:25], v[47:48]
	v_mul_f64 v[47:48], v[205:206], s[44:45]
	v_add_f64 v[30:31], v[32:33], v[30:31]
	v_fma_f64 v[32:33], v[164:165], s[8:9], v[22:23]
	v_fma_f64 v[22:23], v[164:165], s[8:9], -v[22:23]
	v_add_f64 v[18:19], v[49:50], v[18:19]
	v_mul_f64 v[49:50], v[207:208], s[28:29]
	v_add_f64 v[32:33], v[32:33], v[187:188]
	v_add_f64 v[22:23], v[22:23], v[174:175]
	v_mul_f64 v[187:188], v[26:27], s[20:21]
	v_mul_f64 v[26:27], v[26:27], s[16:17]
	v_add_f64 v[32:33], v[41:42], v[32:33]
	v_fma_f64 v[41:42], v[178:179], s[42:43], v[45:46]
	v_add_f64 v[22:23], v[43:44], v[22:23]
	v_fma_f64 v[43:44], v[178:179], s[24:25], v[45:46]
	;; [unrolled: 2-line block ×3, first 2 shown]
	v_add_f64 v[36:37], v[43:44], v[36:37]
	v_fma_f64 v[43:44], v[193:194], s[28:29], -v[47:48]
	v_add_f64 v[32:33], v[41:42], v[32:33]
	v_fma_f64 v[41:42], v[195:196], s[30:31], v[49:50]
	v_add_f64 v[22:23], v[43:44], v[22:23]
	v_fma_f64 v[43:44], v[195:196], s[44:45], v[49:50]
	v_mul_f64 v[49:50], v[197:198], s[12:13]
	v_add_f64 v[39:40], v[41:42], v[39:40]
	v_fma_f64 v[41:42], v[8:9], s[20:21], v[185:186]
	v_add_f64 v[36:37], v[43:44], v[36:37]
	v_fma_f64 v[43:44], v[8:9], s[20:21], -v[185:186]
	v_add_f64 v[32:33], v[41:42], v[32:33]
	v_fma_f64 v[41:42], v[14:15], s[26:27], v[187:188]
	v_add_f64 v[22:23], v[43:44], v[22:23]
	v_fma_f64 v[43:44], v[14:15], s[36:37], v[187:188]
	;; [unrolled: 2-line block ×3, first 2 shown]
	v_add_f64 v[36:37], v[43:44], v[36:37]
	v_fma_f64 v[43:44], v[209:210], s[16:17], -v[189:190]
	v_add_f64 v[39:40], v[39:40], v[32:33]
	v_mul_f64 v[32:33], v[211:212], s[16:17]
	v_add_f64 v[43:44], v[43:44], v[22:23]
	v_fma_f64 v[191:192], v[20:21], s[40:41], v[32:33]
	v_fma_f64 v[32:33], v[20:21], s[6:7], v[32:33]
	v_add_f64 v[41:42], v[191:192], v[41:42]
	v_add_f64 v[45:46], v[32:33], v[36:37]
	v_mul_f64 v[32:33], v[181:182], s[36:37]
	v_mul_f64 v[36:37], v[183:184], s[20:21]
	;; [unrolled: 1-line block ×3, first 2 shown]
	v_fma_f64 v[22:23], v[164:165], s[20:21], v[32:33]
	v_fma_f64 v[47:48], v[166:167], s[26:27], v[36:37]
	v_fma_f64 v[32:33], v[164:165], s[20:21], -v[32:33]
	v_fma_f64 v[36:37], v[166:167], s[36:37], v[36:37]
	v_add_f64 v[22:23], v[22:23], v[170:171]
	v_add_f64 v[47:48], v[47:48], v[168:169]
	v_fma_f64 v[168:169], v[176:177], s[22:23], v[49:50]
	v_fma_f64 v[49:50], v[176:177], s[22:23], -v[49:50]
	v_add_f64 v[32:33], v[32:33], v[160:161]
	v_add_f64 v[36:37], v[36:37], v[162:163]
	;; [unrolled: 1-line block ×3, first 2 shown]
	v_mul_f64 v[168:169], v[199:200], s[22:23]
	v_add_f64 v[32:33], v[49:50], v[32:33]
	v_fma_f64 v[170:171], v[178:179], s[38:39], v[168:169]
	v_fma_f64 v[164:165], v[178:179], s[12:13], v[168:169]
	v_add_f64 v[47:48], v[170:171], v[47:48]
	v_mul_f64 v[170:171], v[205:206], s[42:43]
	v_add_f64 v[36:37], v[164:165], v[36:37]
	v_fma_f64 v[172:173], v[193:194], s[18:19], v[170:171]
	v_fma_f64 v[160:161], v[193:194], s[18:19], -v[170:171]
	v_add_f64 v[22:23], v[172:173], v[22:23]
	v_mul_f64 v[172:173], v[207:208], s[18:19]
	v_fma_f64 v[174:175], v[195:196], s[24:25], v[172:173]
	v_fma_f64 v[162:163], v[195:196], s[42:43], v[172:173]
	v_add_f64 v[47:48], v[174:175], v[47:48]
	v_mul_f64 v[174:175], v[24:25], s[6:7]
	v_fma_f64 v[24:25], v[8:9], s[16:17], v[174:175]
	v_fma_f64 v[8:9], v[8:9], s[16:17], -v[174:175]
	v_add_f64 v[22:23], v[24:25], v[22:23]
	v_fma_f64 v[24:25], v[14:15], s[40:41], v[26:27]
	v_fma_f64 v[14:15], v[14:15], s[6:7], v[26:27]
	v_add_f64 v[26:27], v[160:161], v[32:33]
	v_add_f64 v[32:33], v[162:163], v[36:37]
	;; [unrolled: 1-line block ×3, first 2 shown]
	v_mul_f64 v[47:48], v[213:214], s[34:35]
	v_add_f64 v[8:9], v[8:9], v[26:27]
	v_add_f64 v[14:15], v[14:15], v[32:33]
	v_fma_f64 v[182:183], v[209:210], s[8:9], v[47:48]
	v_fma_f64 v[36:37], v[209:210], s[8:9], -v[47:48]
	v_add_f64 v[22:23], v[182:183], v[22:23]
	v_fma_f64 v[182:183], v[20:21], s[14:15], v[180:181]
	v_fma_f64 v[20:21], v[20:21], s[34:35], v[180:181]
	v_add_f64 v[160:161], v[36:37], v[8:9]
	v_add_f64 v[8:9], v[90:91], v[148:149]
	;; [unrolled: 1-line block ×25, first 2 shown]
	ds_write_b128 v38, v[52:55] offset:208
	ds_write_b128 v38, v[60:63] offset:416
	;; [unrolled: 1-line block ×12, first 2 shown]
	ds_write_b128 v38, v[64:67]
	s_waitcnt lgkmcnt(0)
	s_barrier
	buffer_gl0_inv
	ds_read_b128 v[0:3], v35 offset:2704
	ds_read_b128 v[24:27], v35
	s_waitcnt lgkmcnt(1)
	v_mul_f64 v[4:5], v[106:107], v[2:3]
	v_fma_f64 v[32:33], v[104:105], v[0:1], v[4:5]
	v_mul_f64 v[0:1], v[106:107], v[0:1]
	v_fma_f64 v[36:37], v[104:105], v[2:3], -v[0:1]
	ds_read_b128 v[2:5], v35 offset:5408
	ds_read_b128 v[6:9], v35 offset:8112
	;; [unrolled: 1-line block ×4, first 2 shown]
	s_waitcnt lgkmcnt(3)
	v_mul_f64 v[0:1], v[118:119], v[4:5]
	v_fma_f64 v[0:1], v[116:117], v[2:3], v[0:1]
	v_mul_f64 v[2:3], v[118:119], v[2:3]
	v_fma_f64 v[2:3], v[116:117], v[4:5], -v[2:3]
	s_waitcnt lgkmcnt(2)
	v_mul_f64 v[4:5], v[114:115], v[8:9]
	v_fma_f64 v[4:5], v[112:113], v[6:7], v[4:5]
	v_mul_f64 v[6:7], v[114:115], v[6:7]
	v_fma_f64 v[6:7], v[112:113], v[8:9], -v[6:7]
	;; [unrolled: 5-line block ×4, first 2 shown]
	ds_read_b128 v[16:19], v35 offset:16224
	ds_read_b128 v[20:23], v35 offset:18928
	s_waitcnt lgkmcnt(1)
	v_mul_f64 v[28:29], v[134:135], v[18:19]
	v_fma_f64 v[52:53], v[132:133], v[16:17], v[28:29]
	v_mul_f64 v[16:17], v[134:135], v[16:17]
	v_fma_f64 v[54:55], v[132:133], v[18:19], -v[16:17]
	s_waitcnt lgkmcnt(0)
	v_mul_f64 v[16:17], v[126:127], v[22:23]
	v_fma_f64 v[56:57], v[124:125], v[20:21], v[16:17]
	v_mul_f64 v[16:17], v[126:127], v[20:21]
	v_add_f64 v[150:151], v[52:53], v[56:57]
	v_fma_f64 v[58:59], v[124:125], v[22:23], -v[16:17]
	ds_read_b128 v[16:19], v35 offset:21632
	ds_read_b128 v[20:23], v35 offset:24336
	v_add_f64 v[154:155], v[52:53], -v[56:57]
	s_waitcnt lgkmcnt(1)
	v_mul_f64 v[28:29], v[138:139], v[18:19]
	v_add_f64 v[148:149], v[54:55], -v[58:59]
	v_fma_f64 v[60:61], v[136:137], v[16:17], v[28:29]
	v_mul_f64 v[16:17], v[138:139], v[16:17]
	v_mul_f64 v[152:153], v[148:149], s[30:31]
	v_fma_f64 v[62:63], v[136:137], v[18:19], -v[16:17]
	s_waitcnt lgkmcnt(0)
	v_mul_f64 v[16:17], v[110:111], v[22:23]
	v_mul_f64 v[18:19], v[110:111], v[20:21]
	v_fma_f64 v[16:17], v[108:109], v[20:21], v[16:17]
	v_fma_f64 v[18:19], v[108:109], v[22:23], -v[18:19]
	ds_read_b128 v[20:23], v35 offset:27040
	ds_read_b128 v[28:31], v35 offset:29744
	s_waitcnt lgkmcnt(1)
	v_mul_f64 v[38:39], v[122:123], v[22:23]
	v_add_f64 v[134:135], v[8:9], v[16:17]
	v_add_f64 v[132:133], v[10:11], -v[18:19]
	v_add_f64 v[136:137], v[10:11], v[18:19]
	v_add_f64 v[138:139], v[8:9], -v[16:17]
	v_fma_f64 v[64:65], v[120:121], v[20:21], v[38:39]
	v_mul_f64 v[20:21], v[122:123], v[20:21]
	v_add_f64 v[126:127], v[4:5], v[64:65]
	v_fma_f64 v[66:67], v[120:121], v[22:23], -v[20:21]
	s_waitcnt lgkmcnt(0)
	v_mul_f64 v[20:21], v[146:147], v[30:31]
	v_add_f64 v[130:131], v[4:5], -v[64:65]
	v_add_f64 v[124:125], v[6:7], -v[66:67]
	v_fma_f64 v[68:69], v[144:145], v[28:29], v[20:21]
	v_mul_f64 v[20:21], v[146:147], v[28:29]
	v_add_f64 v[128:129], v[6:7], v[66:67]
	v_add_f64 v[146:147], v[12:13], -v[60:61]
	v_fma_f64 v[70:71], v[144:145], v[30:31], -v[20:21]
	ds_read_b128 v[20:23], v35 offset:32448
	v_add_f64 v[144:145], v[14:15], v[62:63]
	s_waitcnt lgkmcnt(0)
	v_mul_f64 v[28:29], v[142:143], v[20:21]
	v_add_f64 v[120:121], v[2:3], -v[70:71]
	v_add_f64 v[122:123], v[2:3], v[70:71]
	v_fma_f64 v[72:73], v[140:141], v[22:23], -v[28:29]
	v_mul_f64 v[22:23], v[142:143], v[22:23]
	v_add_f64 v[142:143], v[12:13], v[60:61]
	v_fma_f64 v[74:75], v[140:141], v[20:21], v[22:23]
	v_add_f64 v[20:21], v[36:37], -v[72:73]
	v_add_f64 v[140:141], v[14:15], -v[62:63]
	v_add_f64 v[42:43], v[32:33], v[74:75]
	v_mul_f64 v[22:23], v[20:21], s[26:27]
	v_mul_f64 v[28:29], v[20:21], s[24:25]
	;; [unrolled: 1-line block ×6, first 2 shown]
	v_add_f64 v[90:91], v[32:33], -v[74:75]
	v_fma_f64 v[44:45], v[42:43], s[20:21], v[22:23]
	v_fma_f64 v[46:47], v[42:43], s[20:21], -v[22:23]
	v_fma_f64 v[48:49], v[42:43], s[18:19], v[28:29]
	v_fma_f64 v[28:29], v[42:43], s[18:19], -v[28:29]
	v_fma_f64 v[50:51], v[42:43], s[8:9], v[30:31]
	v_fma_f64 v[30:31], v[42:43], s[8:9], -v[30:31]
	v_fma_f64 v[76:77], v[42:43], s[16:17], v[38:39]
	v_fma_f64 v[38:39], v[42:43], s[16:17], -v[38:39]
	v_fma_f64 v[78:79], v[42:43], s[22:23], v[40:41]
	v_fma_f64 v[40:41], v[42:43], s[22:23], -v[40:41]
	v_fma_f64 v[80:81], v[42:43], s[28:29], v[20:21]
	v_fma_f64 v[42:43], v[42:43], s[28:29], -v[20:21]
	v_add_f64 v[20:21], v[36:37], v[72:73]
	v_add_f64 v[48:49], v[24:25], v[48:49]
	;; [unrolled: 1-line block ×7, first 2 shown]
	v_mul_f64 v[40:41], v[120:121], s[24:25]
	v_add_f64 v[114:115], v[24:25], v[78:79]
	v_mul_f64 v[22:23], v[20:21], s[20:21]
	v_mul_f64 v[82:83], v[20:21], s[18:19]
	;; [unrolled: 1-line block ×6, first 2 shown]
	v_add_f64 v[78:79], v[0:1], -v[68:69]
	v_fma_f64 v[38:39], v[76:77], s[18:19], v[40:41]
	v_fma_f64 v[40:41], v[76:77], s[18:19], -v[40:41]
	v_fma_f64 v[92:93], v[90:91], s[36:37], v[22:23]
	v_fma_f64 v[94:95], v[90:91], s[26:27], v[22:23]
	;; [unrolled: 1-line block ×12, first 2 shown]
	v_add_f64 v[20:21], v[24:25], v[32:33]
	v_add_f64 v[22:23], v[26:27], v[36:37]
	;; [unrolled: 1-line block ×12, first 2 shown]
	v_mul_f64 v[42:43], v[122:123], s[18:19]
	v_mul_f64 v[80:81], v[124:125], s[14:15]
	v_add_f64 v[106:107], v[26:27], v[84:85]
	v_mul_f64 v[84:85], v[128:129], s[8:9]
	v_add_f64 v[112:113], v[26:27], v[86:87]
	;; [unrolled: 2-line block ×3, first 2 shown]
	v_add_f64 v[40:41], v[40:41], v[44:45]
	v_add_f64 v[118:119], v[26:27], v[88:89]
	v_mul_f64 v[88:89], v[136:137], s[16:17]
	v_add_f64 v[82:83], v[26:27], v[82:83]
	v_add_f64 v[100:101], v[26:27], v[100:101]
	;; [unrolled: 1-line block ×5, first 2 shown]
	v_mul_f64 v[90:91], v[140:141], s[12:13]
	v_mul_f64 v[104:105], v[144:145], s[22:23]
	v_add_f64 v[0:1], v[20:21], v[0:1]
	v_add_f64 v[2:3], v[22:23], v[2:3]
	v_fma_f64 v[38:39], v[78:79], s[42:43], v[42:43]
	v_fma_f64 v[42:43], v[78:79], s[24:25], v[42:43]
	v_fma_f64 v[44:45], v[126:127], s[8:9], -v[80:81]
	v_add_f64 v[0:1], v[0:1], v[4:5]
	v_add_f64 v[2:3], v[2:3], v[6:7]
	;; [unrolled: 1-line block ×3, first 2 shown]
	v_fma_f64 v[38:39], v[126:127], s[8:9], v[80:81]
	v_add_f64 v[42:43], v[42:43], v[46:47]
	v_add_f64 v[40:41], v[44:45], v[40:41]
	v_fma_f64 v[44:45], v[130:131], s[14:15], v[84:85]
	v_mul_f64 v[80:81], v[120:121], s[6:7]
	v_add_f64 v[0:1], v[0:1], v[8:9]
	v_add_f64 v[2:3], v[2:3], v[10:11]
	v_add_f64 v[32:33], v[38:39], v[32:33]
	v_fma_f64 v[38:39], v[130:131], s[34:35], v[84:85]
	v_mul_f64 v[84:85], v[124:125], s[30:31]
	v_add_f64 v[42:43], v[44:45], v[42:43]
	v_fma_f64 v[44:45], v[134:135], s[16:17], -v[86:87]
	v_add_f64 v[0:1], v[0:1], v[12:13]
	v_add_f64 v[2:3], v[2:3], v[14:15]
	v_add_f64 v[36:37], v[38:39], v[36:37]
	v_fma_f64 v[38:39], v[134:135], s[16:17], v[86:87]
	v_fma_f64 v[86:87], v[126:127], s[28:29], v[84:85]
	v_add_f64 v[40:41], v[44:45], v[40:41]
	v_fma_f64 v[44:45], v[138:139], s[6:7], v[88:89]
	v_add_f64 v[0:1], v[0:1], v[52:53]
	v_add_f64 v[2:3], v[2:3], v[54:55]
	;; [unrolled: 1-line block ×3, first 2 shown]
	v_fma_f64 v[38:39], v[138:139], s[40:41], v[88:89]
	v_add_f64 v[42:43], v[44:45], v[42:43]
	v_fma_f64 v[44:45], v[142:143], s[22:23], -v[90:91]
	v_add_f64 v[0:1], v[0:1], v[56:57]
	v_add_f64 v[2:3], v[2:3], v[58:59]
	v_add_f64 v[36:37], v[38:39], v[36:37]
	v_fma_f64 v[38:39], v[142:143], s[22:23], v[90:91]
	v_add_f64 v[40:41], v[44:45], v[40:41]
	v_fma_f64 v[44:45], v[146:147], s[12:13], v[104:105]
	v_add_f64 v[0:1], v[0:1], v[60:61]
	v_add_f64 v[2:3], v[2:3], v[62:63]
	;; [unrolled: 1-line block ×3, first 2 shown]
	v_fma_f64 v[38:39], v[146:147], s[38:39], v[104:105]
	v_add_f64 v[42:43], v[44:45], v[42:43]
	v_fma_f64 v[44:45], v[150:151], s[28:29], -v[152:153]
	v_add_f64 v[0:1], v[0:1], v[16:17]
	v_add_f64 v[2:3], v[2:3], v[18:19]
	;; [unrolled: 1-line block ×3, first 2 shown]
	v_fma_f64 v[36:37], v[150:151], s[28:29], v[152:153]
	v_add_f64 v[40:41], v[44:45], v[40:41]
	v_fma_f64 v[44:45], v[76:77], s[16:17], v[80:81]
	v_fma_f64 v[80:81], v[76:77], s[16:17], -v[80:81]
	v_add_f64 v[0:1], v[0:1], v[64:65]
	v_add_f64 v[2:3], v[2:3], v[66:67]
	;; [unrolled: 1-line block ×5, first 2 shown]
	v_mul_f64 v[48:49], v[122:123], s[16:17]
	v_add_f64 v[80:81], v[80:81], v[94:95]
	v_mul_f64 v[94:95], v[132:133], s[36:37]
	v_add_f64 v[0:1], v[0:1], v[68:69]
	v_add_f64 v[2:3], v[2:3], v[70:71]
	v_mul_f64 v[156:157], v[32:33], s[28:29]
	v_add_f64 v[44:45], v[86:87], v[44:45]
	v_mul_f64 v[86:87], v[128:129], s[28:29]
	v_add_f64 v[0:1], v[0:1], v[74:75]
	v_add_f64 v[2:3], v[2:3], v[72:73]
	v_fma_f64 v[46:47], v[154:155], s[30:31], v[156:157]
	v_fma_f64 v[158:159], v[154:155], s[44:45], v[156:157]
	;; [unrolled: 1-line block ×3, first 2 shown]
	v_add_f64 v[42:43], v[46:47], v[42:43]
	v_fma_f64 v[46:47], v[78:79], s[40:41], v[48:49]
	v_fma_f64 v[48:49], v[78:79], s[6:7], v[48:49]
	v_add_f64 v[38:39], v[158:159], v[38:39]
	v_add_f64 v[46:47], v[46:47], v[92:93]
	;; [unrolled: 1-line block ×3, first 2 shown]
	v_fma_f64 v[82:83], v[126:127], s[28:29], -v[84:85]
	v_add_f64 v[46:47], v[88:89], v[46:47]
	v_mul_f64 v[88:89], v[132:133], s[38:39]
	v_add_f64 v[80:81], v[82:83], v[80:81]
	v_fma_f64 v[82:83], v[130:131], s[30:31], v[86:87]
	v_fma_f64 v[90:91], v[134:135], s[22:23], v[88:89]
	v_add_f64 v[48:49], v[82:83], v[48:49]
	v_fma_f64 v[82:83], v[134:135], s[22:23], -v[88:89]
	v_mul_f64 v[88:89], v[122:123], s[28:29]
	v_add_f64 v[44:45], v[90:91], v[44:45]
	v_mul_f64 v[90:91], v[136:137], s[22:23]
	v_add_f64 v[80:81], v[82:83], v[80:81]
	v_fma_f64 v[92:93], v[138:139], s[12:13], v[90:91]
	v_fma_f64 v[82:83], v[138:139], s[38:39], v[90:91]
	v_mul_f64 v[90:91], v[124:125], s[40:41]
	v_add_f64 v[46:47], v[92:93], v[46:47]
	v_mul_f64 v[92:93], v[140:141], s[34:35]
	v_add_f64 v[48:49], v[82:83], v[48:49]
	v_fma_f64 v[86:87], v[126:127], s[16:17], v[90:91]
	v_fma_f64 v[90:91], v[126:127], s[16:17], -v[90:91]
	v_fma_f64 v[104:105], v[142:143], s[8:9], v[92:93]
	v_fma_f64 v[82:83], v[142:143], s[8:9], -v[92:93]
	v_mul_f64 v[92:93], v[128:129], s[16:17]
	v_add_f64 v[44:45], v[104:105], v[44:45]
	v_mul_f64 v[104:105], v[144:145], s[8:9]
	v_add_f64 v[80:81], v[82:83], v[80:81]
	v_fma_f64 v[152:153], v[146:147], s[14:15], v[104:105]
	v_fma_f64 v[82:83], v[146:147], s[34:35], v[104:105]
	v_mul_f64 v[104:105], v[140:141], s[24:25]
	v_add_f64 v[46:47], v[152:153], v[46:47]
	v_mul_f64 v[152:153], v[148:149], s[36:37]
	v_add_f64 v[48:49], v[82:83], v[48:49]
	v_fma_f64 v[156:157], v[150:151], s[20:21], v[152:153]
	v_fma_f64 v[82:83], v[150:151], s[20:21], -v[152:153]
	v_mul_f64 v[152:153], v[144:145], s[18:19]
	v_add_f64 v[44:45], v[156:157], v[44:45]
	v_mul_f64 v[156:157], v[32:33], s[20:21]
	v_add_f64 v[80:81], v[82:83], v[80:81]
	v_fma_f64 v[84:85], v[154:155], s[36:37], v[156:157]
	v_fma_f64 v[158:159], v[154:155], s[26:27], v[156:157]
	v_mul_f64 v[156:157], v[148:149], s[12:13]
	v_add_f64 v[82:83], v[84:85], v[48:49]
	v_mul_f64 v[48:49], v[120:121], s[30:31]
	v_add_f64 v[46:47], v[158:159], v[46:47]
	v_fma_f64 v[84:85], v[76:77], s[28:29], v[48:49]
	v_fma_f64 v[48:49], v[76:77], s[28:29], -v[48:49]
	v_add_f64 v[50:51], v[84:85], v[50:51]
	v_fma_f64 v[84:85], v[78:79], s[44:45], v[88:89]
	v_add_f64 v[48:49], v[48:49], v[98:99]
	v_fma_f64 v[88:89], v[78:79], s[30:31], v[88:89]
	v_mul_f64 v[98:99], v[124:125], s[36:37]
	v_add_f64 v[50:51], v[86:87], v[50:51]
	v_add_f64 v[84:85], v[84:85], v[96:97]
	v_fma_f64 v[86:87], v[130:131], s[6:7], v[92:93]
	v_mul_f64 v[96:97], v[136:137], s[20:21]
	v_add_f64 v[88:89], v[88:89], v[106:107]
	;; [unrolled: 4-line block ×3, first 2 shown]
	v_fma_f64 v[86:87], v[134:135], s[20:21], v[94:95]
	v_add_f64 v[88:89], v[90:91], v[88:89]
	v_fma_f64 v[90:91], v[134:135], s[20:21], -v[94:95]
	v_fma_f64 v[94:95], v[126:127], s[20:21], v[98:99]
	v_fma_f64 v[98:99], v[126:127], s[20:21], -v[98:99]
	v_add_f64 v[50:51], v[86:87], v[50:51]
	v_fma_f64 v[86:87], v[138:139], s[26:27], v[96:97]
	v_add_f64 v[48:49], v[90:91], v[48:49]
	v_fma_f64 v[90:91], v[138:139], s[36:37], v[96:97]
	v_mul_f64 v[96:97], v[122:123], s[22:23]
	v_add_f64 v[84:85], v[86:87], v[84:85]
	v_fma_f64 v[86:87], v[142:143], s[18:19], v[104:105]
	v_add_f64 v[88:89], v[90:91], v[88:89]
	v_fma_f64 v[90:91], v[142:143], s[18:19], -v[104:105]
	v_fma_f64 v[92:93], v[78:79], s[12:13], v[96:97]
	v_mul_f64 v[104:105], v[132:133], s[14:15]
	v_fma_f64 v[96:97], v[78:79], s[38:39], v[96:97]
	v_add_f64 v[50:51], v[86:87], v[50:51]
	v_fma_f64 v[86:87], v[146:147], s[42:43], v[152:153]
	v_add_f64 v[48:49], v[90:91], v[48:49]
	;; [unrolled: 2-line block ×3, first 2 shown]
	v_mul_f64 v[100:101], v[128:129], s[20:21]
	v_add_f64 v[96:97], v[96:97], v[112:113]
	v_mul_f64 v[152:153], v[144:145], s[28:29]
	v_mul_f64 v[112:113], v[136:137], s[28:29]
	v_add_f64 v[86:87], v[86:87], v[84:85]
	v_fma_f64 v[84:85], v[150:151], s[22:23], v[156:157]
	v_add_f64 v[90:91], v[90:91], v[88:89]
	v_fma_f64 v[88:89], v[150:151], s[22:23], -v[156:157]
	v_mul_f64 v[156:157], v[148:149], s[42:43]
	v_add_f64 v[84:85], v[84:85], v[50:51]
	v_mul_f64 v[50:51], v[32:33], s[22:23]
	v_add_f64 v[88:89], v[88:89], v[48:49]
	v_mul_f64 v[48:49], v[120:121], s[38:39]
	v_fma_f64 v[158:159], v[154:155], s[38:39], v[50:51]
	v_fma_f64 v[50:51], v[154:155], s[12:13], v[50:51]
	v_add_f64 v[86:87], v[158:159], v[86:87]
	v_add_f64 v[90:91], v[50:51], v[90:91]
	v_fma_f64 v[50:51], v[76:77], s[22:23], v[48:49]
	v_fma_f64 v[48:49], v[76:77], s[22:23], -v[48:49]
	v_add_f64 v[50:51], v[50:51], v[108:109]
	v_add_f64 v[48:49], v[48:49], v[110:111]
	v_mul_f64 v[108:109], v[140:141], s[44:45]
	v_mul_f64 v[110:111], v[132:133], s[44:45]
	v_add_f64 v[50:51], v[94:95], v[50:51]
	v_fma_f64 v[94:95], v[130:131], s[26:27], v[100:101]
	v_add_f64 v[48:49], v[98:99], v[48:49]
	v_fma_f64 v[98:99], v[130:131], s[36:37], v[100:101]
	;; [unrolled: 2-line block ×3, first 2 shown]
	v_add_f64 v[96:97], v[98:99], v[96:97]
	v_fma_f64 v[98:99], v[134:135], s[8:9], -v[104:105]
	v_mul_f64 v[104:105], v[122:123], s[8:9]
	v_add_f64 v[50:51], v[94:95], v[50:51]
	v_fma_f64 v[94:95], v[138:139], s[34:35], v[106:107]
	v_add_f64 v[48:49], v[98:99], v[48:49]
	v_fma_f64 v[98:99], v[138:139], s[14:15], v[106:107]
	v_fma_f64 v[100:101], v[78:79], s[14:15], v[104:105]
	v_mul_f64 v[106:107], v[124:125], s[24:25]
	v_fma_f64 v[104:105], v[78:79], s[34:35], v[104:105]
	v_add_f64 v[92:93], v[94:95], v[92:93]
	v_fma_f64 v[94:95], v[142:143], s[28:29], v[108:109]
	v_add_f64 v[96:97], v[98:99], v[96:97]
	v_fma_f64 v[98:99], v[142:143], s[28:29], -v[108:109]
	v_add_f64 v[100:101], v[100:101], v[102:103]
	v_fma_f64 v[102:103], v[126:127], s[18:19], v[106:107]
	v_mul_f64 v[108:109], v[128:129], s[18:19]
	v_fma_f64 v[106:107], v[126:127], s[18:19], -v[106:107]
	v_add_f64 v[104:105], v[104:105], v[118:119]
	v_add_f64 v[50:51], v[94:95], v[50:51]
	v_fma_f64 v[94:95], v[146:147], s[30:31], v[152:153]
	v_add_f64 v[48:49], v[98:99], v[48:49]
	v_fma_f64 v[98:99], v[146:147], s[44:45], v[152:153]
	v_mul_f64 v[152:153], v[144:145], s[20:21]
	v_add_f64 v[94:95], v[94:95], v[92:93]
	v_fma_f64 v[92:93], v[150:151], s[18:19], v[156:157]
	v_add_f64 v[98:99], v[98:99], v[96:97]
	v_fma_f64 v[96:97], v[150:151], s[18:19], -v[156:157]
	v_mul_f64 v[156:157], v[148:149], s[6:7]
	v_add_f64 v[92:93], v[92:93], v[50:51]
	v_mul_f64 v[50:51], v[32:33], s[18:19]
	v_add_f64 v[96:97], v[96:97], v[48:49]
	v_mul_f64 v[48:49], v[120:121], s[34:35]
	v_fma_f64 v[158:159], v[154:155], s[24:25], v[50:51]
	v_fma_f64 v[50:51], v[154:155], s[42:43], v[50:51]
	v_add_f64 v[94:95], v[158:159], v[94:95]
	v_add_f64 v[98:99], v[50:51], v[98:99]
	v_fma_f64 v[50:51], v[76:77], s[8:9], v[48:49]
	v_fma_f64 v[48:49], v[76:77], s[8:9], -v[48:49]
	v_add_f64 v[50:51], v[50:51], v[114:115]
	v_add_f64 v[48:49], v[48:49], v[116:117]
	v_mul_f64 v[114:115], v[140:141], s[36:37]
	v_add_f64 v[50:51], v[102:103], v[50:51]
	v_fma_f64 v[102:103], v[130:131], s[42:43], v[108:109]
	v_add_f64 v[48:49], v[106:107], v[48:49]
	v_fma_f64 v[106:107], v[130:131], s[24:25], v[108:109]
	v_add_f64 v[100:101], v[102:103], v[100:101]
	v_fma_f64 v[102:103], v[134:135], s[28:29], v[110:111]
	v_add_f64 v[104:105], v[106:107], v[104:105]
	v_fma_f64 v[106:107], v[134:135], s[28:29], -v[110:111]
	v_add_f64 v[50:51], v[102:103], v[50:51]
	v_fma_f64 v[102:103], v[138:139], s[30:31], v[112:113]
	v_add_f64 v[48:49], v[106:107], v[48:49]
	v_fma_f64 v[106:107], v[138:139], s[44:45], v[112:113]
	v_add_f64 v[100:101], v[102:103], v[100:101]
	v_fma_f64 v[102:103], v[142:143], s[20:21], v[114:115]
	v_add_f64 v[104:105], v[106:107], v[104:105]
	v_fma_f64 v[106:107], v[142:143], s[20:21], -v[114:115]
	;; [unrolled: 8-line block ×3, first 2 shown]
	v_add_f64 v[100:101], v[100:101], v[50:51]
	v_mul_f64 v[50:51], v[32:33], s[16:17]
	v_add_f64 v[104:105], v[104:105], v[48:49]
	v_mul_f64 v[48:49], v[120:121], s[36:37]
	v_mul_f64 v[32:33], v[32:33], s[8:9]
	v_fma_f64 v[158:159], v[154:155], s[40:41], v[50:51]
	v_fma_f64 v[50:51], v[154:155], s[6:7], v[50:51]
	v_add_f64 v[102:103], v[158:159], v[102:103]
	v_add_f64 v[106:107], v[50:51], v[106:107]
	v_fma_f64 v[50:51], v[76:77], s[20:21], v[48:49]
	v_fma_f64 v[48:49], v[76:77], s[20:21], -v[48:49]
	v_add_f64 v[30:31], v[50:51], v[30:31]
	v_mul_f64 v[50:51], v[122:123], s[20:21]
	v_add_f64 v[24:25], v[48:49], v[24:25]
	v_mul_f64 v[122:123], v[148:149], s[34:35]
	v_fma_f64 v[108:109], v[78:79], s[26:27], v[50:51]
	v_fma_f64 v[50:51], v[78:79], s[36:37], v[50:51]
	v_add_f64 v[28:29], v[108:109], v[28:29]
	v_mul_f64 v[108:109], v[124:125], s[12:13]
	v_add_f64 v[26:27], v[50:51], v[26:27]
	v_fma_f64 v[110:111], v[126:127], s[22:23], v[108:109]
	v_fma_f64 v[76:77], v[126:127], s[22:23], -v[108:109]
	v_add_f64 v[30:31], v[110:111], v[30:31]
	v_mul_f64 v[110:111], v[128:129], s[22:23]
	v_add_f64 v[24:25], v[76:77], v[24:25]
	v_fma_f64 v[112:113], v[130:131], s[38:39], v[110:111]
	v_fma_f64 v[78:79], v[130:131], s[12:13], v[110:111]
	v_add_f64 v[28:29], v[112:113], v[28:29]
	v_mul_f64 v[112:113], v[132:133], s[42:43]
	v_add_f64 v[26:27], v[78:79], v[26:27]
	v_fma_f64 v[114:115], v[134:135], s[18:19], v[112:113]
	v_fma_f64 v[48:49], v[134:135], s[18:19], -v[112:113]
	v_add_f64 v[30:31], v[114:115], v[30:31]
	v_mul_f64 v[114:115], v[136:137], s[18:19]
	v_add_f64 v[24:25], v[48:49], v[24:25]
	v_fma_f64 v[48:49], v[150:151], s[8:9], -v[122:123]
	v_fma_f64 v[116:117], v[138:139], s[24:25], v[114:115]
	v_fma_f64 v[50:51], v[138:139], s[42:43], v[114:115]
	v_add_f64 v[28:29], v[116:117], v[28:29]
	v_mul_f64 v[116:117], v[140:141], s[6:7]
	v_add_f64 v[26:27], v[50:51], v[26:27]
	v_fma_f64 v[118:119], v[142:143], s[16:17], v[116:117]
	v_fma_f64 v[76:77], v[142:143], s[16:17], -v[116:117]
	v_add_f64 v[30:31], v[118:119], v[30:31]
	v_mul_f64 v[118:119], v[144:145], s[16:17]
	v_add_f64 v[24:25], v[76:77], v[24:25]
	v_fma_f64 v[120:121], v[146:147], s[40:41], v[118:119]
	v_fma_f64 v[78:79], v[146:147], s[6:7], v[118:119]
	v_add_f64 v[24:25], v[48:49], v[24:25]
	v_add_f64 v[120:121], v[120:121], v[28:29]
	v_fma_f64 v[28:29], v[150:151], s[8:9], v[122:123]
	v_add_f64 v[26:27], v[78:79], v[26:27]
	v_add_f64 v[28:29], v[28:29], v[30:31]
	v_fma_f64 v[30:31], v[154:155], s[14:15], v[32:33]
	v_fma_f64 v[32:33], v[154:155], s[34:35], v[32:33]
	v_add_f64 v[30:31], v[30:31], v[120:121]
	v_add_f64 v[26:27], v[32:33], v[26:27]
	ds_write_b128 v35, v[36:39] offset:2704
	ds_write_b128 v35, v[44:47] offset:5408
	;; [unrolled: 1-line block ×12, first 2 shown]
	ds_write_b128 v35, v[0:3]
	s_waitcnt lgkmcnt(0)
	s_barrier
	buffer_gl0_inv
	ds_read_b128 v[52:55], v35
	ds_read_b128 v[4:7], v35 offset:2704
	s_clause 0x3
	buffer_load_dword v8, off, s[48:51], 0 offset:200
	buffer_load_dword v9, off, s[48:51], 0 offset:204
	;; [unrolled: 1-line block ×4, first 2 shown]
	s_waitcnt vmcnt(2)
	v_mov_b32_e32 v21, v9
	s_waitcnt vmcnt(0) lgkmcnt(1)
	v_mul_f64 v[0:1], v[10:11], v[54:55]
	v_mul_f64 v[2:3], v[10:11], v[52:53]
	v_mov_b32_e32 v20, v8
	ds_read_b128 v[8:11], v35 offset:5408
	s_clause 0x3
	buffer_load_dword v12, off, s[48:51], 0 offset:184
	buffer_load_dword v13, off, s[48:51], 0 offset:188
	;; [unrolled: 1-line block ×4, first 2 shown]
	v_fma_f64 v[0:1], v[20:21], v[52:53], v[0:1]
	v_fma_f64 v[2:3], v[20:21], v[54:55], -v[2:3]
	s_waitcnt vmcnt(2)
	v_mov_b32_e32 v29, v13
	s_waitcnt vmcnt(0) lgkmcnt(1)
	v_mul_f64 v[16:17], v[14:15], v[6:7]
	v_mul_f64 v[18:19], v[14:15], v[4:5]
	v_mov_b32_e32 v28, v12
	ds_read_b128 v[12:15], v35 offset:8112
	s_clause 0x3
	buffer_load_dword v24, off, s[48:51], 0 offset:168
	buffer_load_dword v25, off, s[48:51], 0 offset:172
	;; [unrolled: 1-line block ×4, first 2 shown]
	v_fma_f64 v[4:5], v[28:29], v[4:5], v[16:17]
	v_fma_f64 v[6:7], v[28:29], v[6:7], -v[18:19]
	ds_read_b128 v[16:19], v35 offset:10816
	s_clause 0x3
	buffer_load_dword v28, off, s[48:51], 0 offset:152
	buffer_load_dword v29, off, s[48:51], 0 offset:156
	;; [unrolled: 1-line block ×4, first 2 shown]
	s_waitcnt vmcnt(4) lgkmcnt(2)
	v_mul_f64 v[20:21], v[26:27], v[10:11]
	v_mul_f64 v[22:23], v[26:27], v[8:9]
	v_mov_b32_e32 v37, v25
	v_mov_b32_e32 v36, v24
	s_waitcnt vmcnt(0) lgkmcnt(1)
	v_mul_f64 v[24:25], v[30:31], v[14:15]
	v_fma_f64 v[20:21], v[36:37], v[8:9], v[20:21]
	v_fma_f64 v[22:23], v[36:37], v[10:11], -v[22:23]
	ds_read_b128 v[8:11], v35 offset:13520
	s_clause 0x3
	buffer_load_dword v36, off, s[48:51], 0 offset:136
	buffer_load_dword v37, off, s[48:51], 0 offset:140
	;; [unrolled: 1-line block ×4, first 2 shown]
	v_mul_f64 v[26:27], v[30:31], v[12:13]
	v_mov_b32_e32 v33, v29
	v_mov_b32_e32 v32, v28
	v_fma_f64 v[24:25], v[32:33], v[12:13], v[24:25]
	v_fma_f64 v[26:27], v[32:33], v[14:15], -v[26:27]
	ds_read_b128 v[12:15], v35 offset:16224
	s_waitcnt vmcnt(0) lgkmcnt(2)
	v_mul_f64 v[28:29], v[38:39], v[18:19]
	v_mul_f64 v[30:31], v[38:39], v[16:17]
	s_clause 0x3
	buffer_load_dword v38, off, s[48:51], 0 offset:72
	buffer_load_dword v39, off, s[48:51], 0 offset:76
	;; [unrolled: 1-line block ×4, first 2 shown]
	v_mov_b32_e32 v43, v37
	v_mov_b32_e32 v42, v36
	v_fma_f64 v[28:29], v[42:43], v[16:17], v[28:29]
	v_fma_f64 v[30:31], v[42:43], v[18:19], -v[30:31]
	ds_read_b128 v[16:19], v35 offset:18928
	s_clause 0x3
	buffer_load_dword v42, off, s[48:51], 0 offset:88
	buffer_load_dword v43, off, s[48:51], 0 offset:92
	buffer_load_dword v44, off, s[48:51], 0 offset:96
	buffer_load_dword v45, off, s[48:51], 0 offset:100
	s_waitcnt vmcnt(4) lgkmcnt(2)
	v_mul_f64 v[32:33], v[40:41], v[10:11]
	v_mul_f64 v[36:37], v[40:41], v[8:9]
	v_mov_b32_e32 v49, v39
	v_mov_b32_e32 v48, v38
	v_fma_f64 v[32:33], v[48:49], v[8:9], v[32:33]
	v_fma_f64 v[36:37], v[48:49], v[10:11], -v[36:37]
	s_clause 0x3
	buffer_load_dword v8, off, s[48:51], 0 offset:104
	buffer_load_dword v9, off, s[48:51], 0 offset:108
	;; [unrolled: 1-line block ×4, first 2 shown]
	s_waitcnt vmcnt(6)
	v_mov_b32_e32 v47, v43
	s_waitcnt vmcnt(4) lgkmcnt(1)
	v_mul_f64 v[38:39], v[44:45], v[14:15]
	v_mul_f64 v[40:41], v[44:45], v[12:13]
	v_mov_b32_e32 v46, v42
	v_mad_u64_u32 v[48:49], null, s0, v34, 0
	v_fma_f64 v[38:39], v[46:47], v[12:13], v[38:39]
	v_fma_f64 v[40:41], v[46:47], v[14:15], -v[40:41]
	s_waitcnt vmcnt(0) lgkmcnt(0)
	v_mul_f64 v[42:43], v[10:11], v[18:19]
	v_mul_f64 v[44:45], v[10:11], v[16:17]
	v_mov_b32_e32 v51, v9
	v_mov_b32_e32 v50, v8
	ds_read_b128 v[8:11], v35 offset:21632
	s_clause 0x1
	buffer_load_dword v54, off, s[48:51], 0
	buffer_load_dword v55, off, s[48:51], 0 offset:4
	ds_read_b128 v[12:15], v35 offset:24336
	v_fma_f64 v[42:43], v[50:51], v[16:17], v[42:43]
	v_fma_f64 v[44:45], v[50:51], v[18:19], -v[44:45]
	s_clause 0x3
	buffer_load_dword v16, off, s[48:51], 0 offset:8
	buffer_load_dword v17, off, s[48:51], 0 offset:12
	;; [unrolled: 1-line block ×4, first 2 shown]
	s_waitcnt vmcnt(5)
	v_mad_u64_u32 v[46:47], null, s2, v54, 0
	s_mul_hi_u32 s2, s0, 0xa90
	s_waitcnt vmcnt(2)
	v_mov_b32_e32 v57, v17
	s_waitcnt vmcnt(0) lgkmcnt(1)
	v_mul_f64 v[50:51], v[18:19], v[10:11]
	v_mul_f64 v[52:53], v[18:19], v[8:9]
	v_mov_b32_e32 v56, v16
	v_mad_u64_u32 v[17:18], null, s3, v54, v[47:48]
	v_mov_b32_e32 v16, v49
	s_mul_i32 s3, s0, 0xa90
	v_mad_u64_u32 v[54:55], null, s1, v34, v[16:17]
	v_mov_b32_e32 v47, v17
	ds_read_b128 v[16:19], v35 offset:27040
	s_clause 0x3
	buffer_load_dword v58, off, s[48:51], 0 offset:24
	buffer_load_dword v59, off, s[48:51], 0 offset:28
	;; [unrolled: 1-line block ×4, first 2 shown]
	s_mulk_i32 s1, 0xa90
	v_lshlrev_b64 v[46:47], 4, v[46:47]
	v_mov_b32_e32 v49, v54
	s_add_i32 s2, s2, s1
	s_mov_b32 s0, 0xaab49c24
	v_fma_f64 v[50:51], v[56:57], v[8:9], v[50:51]
	v_fma_f64 v[52:53], v[56:57], v[10:11], -v[52:53]
	ds_read_b128 v[8:11], v35 offset:29744
	s_clause 0x3
	buffer_load_dword v62, off, s[48:51], 0 offset:40
	buffer_load_dword v63, off, s[48:51], 0 offset:44
	;; [unrolled: 1-line block ×4, first 2 shown]
	v_lshlrev_b64 v[48:49], 4, v[48:49]
	v_add_co_u32 v34, vcc_lo, s4, v46
	v_add_co_ci_u32_e32 v47, vcc_lo, s5, v47, vcc_lo
	s_mov_b32 s1, 0x3f3dd46b
	v_add_co_u32 v46, vcc_lo, v34, v48
	v_add_co_ci_u32_e32 v47, vcc_lo, v47, v49, vcc_lo
	v_mul_f64 v[0:1], v[0:1], s[0:1]
	v_mul_f64 v[2:3], v[2:3], s[0:1]
	;; [unrolled: 1-line block ×4, first 2 shown]
	s_waitcnt vmcnt(4) lgkmcnt(2)
	v_mul_f64 v[54:55], v[60:61], v[14:15]
	v_mul_f64 v[56:57], v[60:61], v[12:13]
	v_mov_b32_e32 v61, v59
	v_mov_b32_e32 v60, v58
	s_waitcnt vmcnt(0) lgkmcnt(1)
	v_mul_f64 v[48:49], v[64:65], v[18:19]
	v_mul_f64 v[58:59], v[64:65], v[16:17]
	v_mov_b32_e32 v65, v63
	v_mov_b32_e32 v64, v62
	v_add_co_u32 v62, vcc_lo, v46, s3
	v_add_co_ci_u32_e32 v63, vcc_lo, s2, v47, vcc_lo
	v_fma_f64 v[54:55], v[60:61], v[12:13], v[54:55]
	v_fma_f64 v[56:57], v[60:61], v[14:15], -v[56:57]
	ds_read_b128 v[12:15], v35 offset:32448
	s_clause 0x3
	buffer_load_dword v66, off, s[48:51], 0 offset:56
	buffer_load_dword v67, off, s[48:51], 0 offset:60
	;; [unrolled: 1-line block ×4, first 2 shown]
	v_fma_f64 v[48:49], v[64:65], v[16:17], v[48:49]
	v_fma_f64 v[58:59], v[64:65], v[18:19], -v[58:59]
	s_clause 0x3
	buffer_load_dword v16, off, s[48:51], 0 offset:120
	buffer_load_dword v17, off, s[48:51], 0 offset:124
	;; [unrolled: 1-line block ×4, first 2 shown]
	v_add_co_u32 v64, vcc_lo, v62, s3
	v_add_co_ci_u32_e32 v65, vcc_lo, s2, v63, vcc_lo
	s_waitcnt vmcnt(4) lgkmcnt(1)
	v_mul_f64 v[34:35], v[68:69], v[10:11]
	v_mov_b32_e32 v75, v67
	v_mov_b32_e32 v74, v66
	v_mul_f64 v[60:61], v[68:69], v[8:9]
	v_add_co_u32 v66, vcc_lo, v64, s3
	v_add_co_ci_u32_e32 v67, vcc_lo, s2, v65, vcc_lo
	s_waitcnt vmcnt(0) lgkmcnt(0)
	v_mul_f64 v[70:71], v[18:19], v[14:15]
	v_mov_b32_e32 v81, v17
	v_mov_b32_e32 v80, v16
	v_add_co_u32 v68, vcc_lo, v66, s3
	v_mul_f64 v[16:17], v[24:25], s[0:1]
	v_add_co_ci_u32_e32 v69, vcc_lo, s2, v67, vcc_lo
	v_mul_f64 v[24:25], v[38:39], s[0:1]
	v_fma_f64 v[72:73], v[74:75], v[8:9], v[34:35]
	v_mul_f64 v[34:35], v[18:19], v[12:13]
	v_mul_f64 v[8:9], v[20:21], s[0:1]
	v_fma_f64 v[60:61], v[74:75], v[10:11], -v[60:61]
	v_mul_f64 v[10:11], v[22:23], s[0:1]
	v_mul_f64 v[18:19], v[26:27], s[0:1]
	;; [unrolled: 1-line block ×4, first 2 shown]
	v_add_co_u32 v74, vcc_lo, v68, s3
	v_fma_f64 v[70:71], v[80:81], v[12:13], v[70:71]
	v_add_co_ci_u32_e32 v75, vcc_lo, s2, v69, vcc_lo
	v_mul_f64 v[12:13], v[32:33], s[0:1]
	v_add_co_u32 v76, vcc_lo, v74, s3
	v_add_co_ci_u32_e32 v77, vcc_lo, s2, v75, vcc_lo
	v_mul_f64 v[26:27], v[40:41], s[0:1]
	v_add_co_u32 v78, vcc_lo, v76, s3
	v_add_co_ci_u32_e32 v79, vcc_lo, s2, v77, vcc_lo
	v_fma_f64 v[80:81], v[80:81], v[14:15], -v[34:35]
	v_mul_f64 v[14:15], v[36:37], s[0:1]
	global_store_dwordx4 v[46:47], v[0:3], off
	global_store_dwordx4 v[62:63], v[4:7], off
	;; [unrolled: 1-line block ×5, first 2 shown]
	v_add_co_u32 v20, vcc_lo, v78, s3
	v_mul_f64 v[28:29], v[42:43], s[0:1]
	v_mul_f64 v[30:31], v[44:45], s[0:1]
	;; [unrolled: 1-line block ×4, first 2 shown]
	v_add_co_ci_u32_e32 v21, vcc_lo, s2, v79, vcc_lo
	v_mul_f64 v[0:1], v[54:55], s[0:1]
	v_mul_f64 v[2:3], v[56:57], s[0:1]
	;; [unrolled: 1-line block ×7, first 2 shown]
	v_add_co_u32 v22, vcc_lo, v20, s3
	v_add_co_ci_u32_e32 v23, vcc_lo, s2, v21, vcc_lo
	v_mul_f64 v[18:19], v[80:81], s[0:1]
	global_store_dwordx4 v[74:75], v[12:15], off
	v_add_co_u32 v12, vcc_lo, v22, s3
	v_add_co_ci_u32_e32 v13, vcc_lo, s2, v23, vcc_lo
	global_store_dwordx4 v[76:77], v[24:27], off
	v_add_co_u32 v14, vcc_lo, v12, s3
	v_add_co_ci_u32_e32 v15, vcc_lo, s2, v13, vcc_lo
	;; [unrolled: 3-line block ×3, first 2 shown]
	global_store_dwordx4 v[20:21], v[32:35], off
	global_store_dwordx4 v[22:23], v[0:3], off
	;; [unrolled: 1-line block ×5, first 2 shown]
.LBB0_2:
	s_endpgm
	.section	.rodata,"a",@progbits
	.p2align	6, 0x0
	.amdhsa_kernel bluestein_single_back_len2197_dim1_dp_op_CI_CI
		.amdhsa_group_segment_fixed_size 35152
		.amdhsa_private_segment_fixed_size 236
		.amdhsa_kernarg_size 104
		.amdhsa_user_sgpr_count 6
		.amdhsa_user_sgpr_private_segment_buffer 1
		.amdhsa_user_sgpr_dispatch_ptr 0
		.amdhsa_user_sgpr_queue_ptr 0
		.amdhsa_user_sgpr_kernarg_segment_ptr 1
		.amdhsa_user_sgpr_dispatch_id 0
		.amdhsa_user_sgpr_flat_scratch_init 0
		.amdhsa_user_sgpr_private_segment_size 0
		.amdhsa_wavefront_size32 1
		.amdhsa_uses_dynamic_stack 0
		.amdhsa_system_sgpr_private_segment_wavefront_offset 1
		.amdhsa_system_sgpr_workgroup_id_x 1
		.amdhsa_system_sgpr_workgroup_id_y 0
		.amdhsa_system_sgpr_workgroup_id_z 0
		.amdhsa_system_sgpr_workgroup_info 0
		.amdhsa_system_vgpr_workitem_id 0
		.amdhsa_next_free_vgpr 256
		.amdhsa_next_free_sgpr 52
		.amdhsa_reserve_vcc 1
		.amdhsa_reserve_flat_scratch 0
		.amdhsa_float_round_mode_32 0
		.amdhsa_float_round_mode_16_64 0
		.amdhsa_float_denorm_mode_32 3
		.amdhsa_float_denorm_mode_16_64 3
		.amdhsa_dx10_clamp 1
		.amdhsa_ieee_mode 1
		.amdhsa_fp16_overflow 0
		.amdhsa_workgroup_processor_mode 1
		.amdhsa_memory_ordered 1
		.amdhsa_forward_progress 0
		.amdhsa_shared_vgpr_count 0
		.amdhsa_exception_fp_ieee_invalid_op 0
		.amdhsa_exception_fp_denorm_src 0
		.amdhsa_exception_fp_ieee_div_zero 0
		.amdhsa_exception_fp_ieee_overflow 0
		.amdhsa_exception_fp_ieee_underflow 0
		.amdhsa_exception_fp_ieee_inexact 0
		.amdhsa_exception_int_div_zero 0
	.end_amdhsa_kernel
	.text
.Lfunc_end0:
	.size	bluestein_single_back_len2197_dim1_dp_op_CI_CI, .Lfunc_end0-bluestein_single_back_len2197_dim1_dp_op_CI_CI
                                        ; -- End function
	.section	.AMDGPU.csdata,"",@progbits
; Kernel info:
; codeLenInByte = 28220
; NumSgprs: 54
; NumVgprs: 256
; ScratchSize: 236
; MemoryBound: 0
; FloatMode: 240
; IeeeMode: 1
; LDSByteSize: 35152 bytes/workgroup (compile time only)
; SGPRBlocks: 6
; VGPRBlocks: 31
; NumSGPRsForWavesPerEU: 54
; NumVGPRsForWavesPerEU: 256
; Occupancy: 4
; WaveLimiterHint : 1
; COMPUTE_PGM_RSRC2:SCRATCH_EN: 1
; COMPUTE_PGM_RSRC2:USER_SGPR: 6
; COMPUTE_PGM_RSRC2:TRAP_HANDLER: 0
; COMPUTE_PGM_RSRC2:TGID_X_EN: 1
; COMPUTE_PGM_RSRC2:TGID_Y_EN: 0
; COMPUTE_PGM_RSRC2:TGID_Z_EN: 0
; COMPUTE_PGM_RSRC2:TIDIG_COMP_CNT: 0
	.text
	.p2alignl 6, 3214868480
	.fill 48, 4, 3214868480
	.type	__hip_cuid_5fddb6436c7ec08c,@object ; @__hip_cuid_5fddb6436c7ec08c
	.section	.bss,"aw",@nobits
	.globl	__hip_cuid_5fddb6436c7ec08c
__hip_cuid_5fddb6436c7ec08c:
	.byte	0                               ; 0x0
	.size	__hip_cuid_5fddb6436c7ec08c, 1

	.ident	"AMD clang version 19.0.0git (https://github.com/RadeonOpenCompute/llvm-project roc-6.4.0 25133 c7fe45cf4b819c5991fe208aaa96edf142730f1d)"
	.section	".note.GNU-stack","",@progbits
	.addrsig
	.addrsig_sym __hip_cuid_5fddb6436c7ec08c
	.amdgpu_metadata
---
amdhsa.kernels:
  - .args:
      - .actual_access:  read_only
        .address_space:  global
        .offset:         0
        .size:           8
        .value_kind:     global_buffer
      - .actual_access:  read_only
        .address_space:  global
        .offset:         8
        .size:           8
        .value_kind:     global_buffer
      - .actual_access:  read_only
        .address_space:  global
        .offset:         16
        .size:           8
        .value_kind:     global_buffer
      - .actual_access:  read_only
        .address_space:  global
        .offset:         24
        .size:           8
        .value_kind:     global_buffer
      - .actual_access:  read_only
        .address_space:  global
        .offset:         32
        .size:           8
        .value_kind:     global_buffer
      - .offset:         40
        .size:           8
        .value_kind:     by_value
      - .address_space:  global
        .offset:         48
        .size:           8
        .value_kind:     global_buffer
      - .address_space:  global
        .offset:         56
        .size:           8
        .value_kind:     global_buffer
      - .address_space:  global
        .offset:         64
        .size:           8
        .value_kind:     global_buffer
      - .address_space:  global
        .offset:         72
        .size:           8
        .value_kind:     global_buffer
      - .offset:         80
        .size:           4
        .value_kind:     by_value
      - .address_space:  global
        .offset:         88
        .size:           8
        .value_kind:     global_buffer
      - .address_space:  global
        .offset:         96
        .size:           8
        .value_kind:     global_buffer
    .group_segment_fixed_size: 35152
    .kernarg_segment_align: 8
    .kernarg_segment_size: 104
    .language:       OpenCL C
    .language_version:
      - 2
      - 0
    .max_flat_workgroup_size: 169
    .name:           bluestein_single_back_len2197_dim1_dp_op_CI_CI
    .private_segment_fixed_size: 236
    .sgpr_count:     54
    .sgpr_spill_count: 0
    .symbol:         bluestein_single_back_len2197_dim1_dp_op_CI_CI.kd
    .uniform_work_group_size: 1
    .uses_dynamic_stack: false
    .vgpr_count:     256
    .vgpr_spill_count: 58
    .wavefront_size: 32
    .workgroup_processor_mode: 1
amdhsa.target:   amdgcn-amd-amdhsa--gfx1030
amdhsa.version:
  - 1
  - 2
...

	.end_amdgpu_metadata
